;; amdgpu-corpus repo=ROCm/hip-tests kind=compiled arch=gfx906 opt=O3
	.amdgcn_target "amdgcn-amd-amdhsa--gfx906"
	.amdhsa_code_object_version 6
	.text
	.protected	_ZN19hipPrintfStressTest22kernel_printf_conststrEj ; -- Begin function _ZN19hipPrintfStressTest22kernel_printf_conststrEj
	.globl	_ZN19hipPrintfStressTest22kernel_printf_conststrEj
	.p2align	8
	.type	_ZN19hipPrintfStressTest22kernel_printf_conststrEj,@function
_ZN19hipPrintfStressTest22kernel_printf_conststrEj: ; @_ZN19hipPrintfStressTest22kernel_printf_conststrEj
; %bb.0:
	s_load_dword s26, s[4:5], 0x0
	s_mov_b32 s8, 0
	s_waitcnt lgkmcnt(0)
	s_cmp_eq_u32 s26, 0
	s_cbranch_scc1 .LBB0_257
; %bb.1:
	s_load_dwordx2 s[2:3], s[4:5], 0x58
	s_getpc_b64 s[0:1]
	s_add_u32 s0, s0, .str@rel32@lo+4
	s_addc_u32 s1, s1, .str@rel32@hi+12
	s_cmp_lg_u64 s[0:1], 0
	s_cselect_b64 s[4:5], -1, 0
	s_getpc_b64 s[0:1]
	s_add_u32 s0, s0, .str.1@rel32@lo+4
	s_addc_u32 s1, s1, .str.1@rel32@hi+12
	v_mbcnt_lo_u32_b32 v0, -1, 0
	s_cmp_lg_u64 s[0:1], 0
	v_mbcnt_hi_u32_b32 v31, -1, v0
	v_mov_b32_e32 v2, 0
	s_cselect_b64 s[6:7], -1, 0
	s_mov_b32 s9, s8
	s_mov_b32 s10, s8
	;; [unrolled: 1-line block ×3, first 2 shown]
	s_movk_i32 s27, 0xff1f
	s_movk_i32 s28, 0xff1d
	v_mov_b32_e32 v5, 2
	v_mov_b32_e32 v6, 1
	v_mov_b32_e32 v0, 33
	s_mov_b32 s29, s8
	s_branch .LBB0_4
.LBB0_2:                                ;   in Loop: Header=BB0_4 Depth=1
	s_or_b64 exec, exec, s[14:15]
.LBB0_3:                                ;   in Loop: Header=BB0_4 Depth=1
	s_add_i32 s29, s29, 1
	s_cmp_eq_u32 s29, s26
	s_cbranch_scc1 .LBB0_257
.LBB0_4:                                ; =>This Loop Header: Depth=1
                                        ;     Child Loop BB0_7 Depth 2
                                        ;     Child Loop BB0_15 Depth 2
	;; [unrolled: 1-line block ×9, first 2 shown]
                                        ;       Child Loop BB0_36 Depth 3
                                        ;       Child Loop BB0_44 Depth 3
	;; [unrolled: 1-line block ×11, first 2 shown]
                                        ;     Child Loop BB0_234 Depth 2
                                        ;     Child Loop BB0_242 Depth 2
	;; [unrolled: 1-line block ×5, first 2 shown]
                                        ;       Child Loop BB0_122 Depth 3
                                        ;       Child Loop BB0_130 Depth 3
	;; [unrolled: 1-line block ×11, first 2 shown]
	v_readfirstlane_b32 s0, v31
	v_mov_b32_e32 v3, 0
	v_mov_b32_e32 v4, 0
	v_cmp_eq_u32_e64 s[0:1], s0, v31
	s_and_saveexec_b64 s[12:13], s[0:1]
	s_cbranch_execz .LBB0_10
; %bb.5:                                ;   in Loop: Header=BB0_4 Depth=1
	s_waitcnt lgkmcnt(0)
	global_load_dwordx2 v[9:10], v2, s[2:3] offset:24 glc
	s_waitcnt vmcnt(0)
	buffer_wbinvl1_vol
	global_load_dwordx2 v[3:4], v2, s[2:3] offset:40
	global_load_dwordx2 v[7:8], v2, s[2:3]
	s_waitcnt vmcnt(1)
	v_and_b32_e32 v1, v3, v9
	v_and_b32_e32 v3, v4, v10
	v_mul_lo_u32 v3, v3, 24
	v_mul_hi_u32 v4, v1, 24
	v_mul_lo_u32 v1, v1, 24
	v_add_u32_e32 v4, v4, v3
	s_waitcnt vmcnt(0)
	v_add_co_u32_e32 v3, vcc, v7, v1
	v_addc_co_u32_e32 v4, vcc, v8, v4, vcc
	global_load_dwordx2 v[7:8], v[3:4], off glc
	s_waitcnt vmcnt(0)
	global_atomic_cmpswap_x2 v[3:4], v2, v[7:10], s[2:3] offset:24 glc
	s_waitcnt vmcnt(0)
	buffer_wbinvl1_vol
	v_cmp_ne_u64_e32 vcc, v[3:4], v[9:10]
	s_and_saveexec_b64 s[14:15], vcc
	s_cbranch_execz .LBB0_9
; %bb.6:                                ;   in Loop: Header=BB0_4 Depth=1
	s_mov_b64 s[16:17], 0
.LBB0_7:                                ;   Parent Loop BB0_4 Depth=1
                                        ; =>  This Inner Loop Header: Depth=2
	s_sleep 1
	global_load_dwordx2 v[7:8], v2, s[2:3] offset:40
	global_load_dwordx2 v[11:12], v2, s[2:3]
	v_mov_b32_e32 v10, v4
	v_mov_b32_e32 v9, v3
	s_waitcnt vmcnt(1)
	v_and_b32_e32 v1, v7, v9
	s_waitcnt vmcnt(0)
	v_mad_u64_u32 v[3:4], s[18:19], v1, 24, v[11:12]
	v_and_b32_e32 v7, v8, v10
	v_mov_b32_e32 v1, v4
	v_mad_u64_u32 v[7:8], s[18:19], v7, 24, v[1:2]
	v_mov_b32_e32 v4, v7
	global_load_dwordx2 v[7:8], v[3:4], off glc
	s_waitcnt vmcnt(0)
	global_atomic_cmpswap_x2 v[3:4], v2, v[7:10], s[2:3] offset:24 glc
	s_waitcnt vmcnt(0)
	buffer_wbinvl1_vol
	v_cmp_eq_u64_e32 vcc, v[3:4], v[9:10]
	s_or_b64 s[16:17], vcc, s[16:17]
	s_andn2_b64 exec, exec, s[16:17]
	s_cbranch_execnz .LBB0_7
; %bb.8:                                ;   in Loop: Header=BB0_4 Depth=1
	s_or_b64 exec, exec, s[16:17]
.LBB0_9:                                ;   in Loop: Header=BB0_4 Depth=1
	s_or_b64 exec, exec, s[14:15]
.LBB0_10:                               ;   in Loop: Header=BB0_4 Depth=1
	s_or_b64 exec, exec, s[12:13]
	s_waitcnt lgkmcnt(0)
	global_load_dwordx2 v[11:12], v2, s[2:3] offset:40
	global_load_dwordx4 v[7:10], v2, s[2:3]
	v_readfirstlane_b32 s13, v4
	v_readfirstlane_b32 s12, v3
	s_mov_b64 s[14:15], exec
	s_waitcnt vmcnt(1)
	v_readfirstlane_b32 s16, v11
	v_readfirstlane_b32 s17, v12
	s_and_b64 s[16:17], s[16:17], s[12:13]
	s_mul_i32 s18, s17, 24
	s_mul_hi_u32 s19, s16, 24
	s_mul_i32 s20, s16, 24
	s_add_i32 s18, s19, s18
	v_mov_b32_e32 v1, s18
	s_waitcnt vmcnt(0)
	v_add_co_u32_e32 v11, vcc, s20, v7
	v_addc_co_u32_e32 v12, vcc, v8, v1, vcc
	s_and_saveexec_b64 s[18:19], s[0:1]
	s_cbranch_execz .LBB0_12
; %bb.11:                               ;   in Loop: Header=BB0_4 Depth=1
	v_mov_b32_e32 v3, s14
	v_mov_b32_e32 v4, s15
	global_store_dwordx4 v[11:12], v[3:6], off offset:8
.LBB0_12:                               ;   in Loop: Header=BB0_4 Depth=1
	s_or_b64 exec, exec, s[18:19]
	s_lshl_b64 s[14:15], s[16:17], 12
	v_mov_b32_e32 v1, s15
	v_add_co_u32_e32 v13, vcc, s14, v9
	v_addc_co_u32_e32 v14, vcc, v10, v1, vcc
	v_mov_b32_e32 v18, s11
	v_lshlrev_b32_e32 v32, 6, v31
	v_mov_b32_e32 v1, v2
	v_mov_b32_e32 v3, v2
	v_readfirstlane_b32 s14, v13
	v_readfirstlane_b32 s15, v14
	v_mov_b32_e32 v17, s10
	v_mov_b32_e32 v16, s9
	;; [unrolled: 1-line block ×3, first 2 shown]
	s_nop 1
	global_store_dwordx4 v32, v[0:3], s[14:15]
	global_store_dwordx4 v32, v[15:18], s[14:15] offset:16
	global_store_dwordx4 v32, v[15:18], s[14:15] offset:32
	;; [unrolled: 1-line block ×3, first 2 shown]
	s_and_saveexec_b64 s[14:15], s[0:1]
	s_cbranch_execz .LBB0_20
; %bb.13:                               ;   in Loop: Header=BB0_4 Depth=1
	global_load_dwordx2 v[17:18], v2, s[2:3] offset:32 glc
	global_load_dwordx2 v[3:4], v2, s[2:3] offset:40
	v_mov_b32_e32 v15, s12
	v_mov_b32_e32 v16, s13
	s_waitcnt vmcnt(0)
	v_readfirstlane_b32 s16, v3
	v_readfirstlane_b32 s17, v4
	s_and_b64 s[16:17], s[16:17], s[12:13]
	s_mul_i32 s17, s17, 24
	s_mul_hi_u32 s18, s16, 24
	s_mul_i32 s16, s16, 24
	s_add_i32 s17, s18, s17
	v_mov_b32_e32 v1, s17
	v_add_co_u32_e32 v3, vcc, s16, v7
	v_addc_co_u32_e32 v4, vcc, v8, v1, vcc
	global_store_dwordx2 v[3:4], v[17:18], off
	s_waitcnt vmcnt(0)
	global_atomic_cmpswap_x2 v[9:10], v2, v[15:18], s[2:3] offset:32 glc
	s_waitcnt vmcnt(0)
	v_cmp_ne_u64_e32 vcc, v[9:10], v[17:18]
	s_and_saveexec_b64 s[16:17], vcc
	s_cbranch_execz .LBB0_16
; %bb.14:                               ;   in Loop: Header=BB0_4 Depth=1
	s_mov_b64 s[18:19], 0
.LBB0_15:                               ;   Parent Loop BB0_4 Depth=1
                                        ; =>  This Inner Loop Header: Depth=2
	s_sleep 1
	global_store_dwordx2 v[3:4], v[9:10], off
	v_mov_b32_e32 v7, s12
	v_mov_b32_e32 v8, s13
	s_waitcnt vmcnt(0)
	global_atomic_cmpswap_x2 v[7:8], v2, v[7:10], s[2:3] offset:32 glc
	s_waitcnt vmcnt(0)
	v_cmp_eq_u64_e32 vcc, v[7:8], v[9:10]
	v_mov_b32_e32 v10, v8
	s_or_b64 s[18:19], vcc, s[18:19]
	v_mov_b32_e32 v9, v7
	s_andn2_b64 exec, exec, s[18:19]
	s_cbranch_execnz .LBB0_15
.LBB0_16:                               ;   in Loop: Header=BB0_4 Depth=1
	s_or_b64 exec, exec, s[16:17]
	global_load_dwordx2 v[3:4], v2, s[2:3] offset:16
	s_mov_b64 s[18:19], exec
	v_mbcnt_lo_u32_b32 v1, s18, 0
	v_mbcnt_hi_u32_b32 v1, s19, v1
	v_cmp_eq_u32_e32 vcc, 0, v1
	s_and_saveexec_b64 s[16:17], vcc
	s_cbranch_execz .LBB0_18
; %bb.17:                               ;   in Loop: Header=BB0_4 Depth=1
	s_bcnt1_i32_b64 s18, s[18:19]
	v_mov_b32_e32 v1, s18
	s_waitcnt vmcnt(0)
	global_atomic_add_x2 v[3:4], v[1:2], off offset:8
.LBB0_18:                               ;   in Loop: Header=BB0_4 Depth=1
	s_or_b64 exec, exec, s[16:17]
	s_waitcnt vmcnt(0)
	global_load_dwordx2 v[7:8], v[3:4], off offset:16
	s_waitcnt vmcnt(0)
	v_cmp_eq_u64_e32 vcc, 0, v[7:8]
	s_cbranch_vccnz .LBB0_20
; %bb.19:                               ;   in Loop: Header=BB0_4 Depth=1
	global_load_dword v1, v[3:4], off offset:24
	s_waitcnt vmcnt(0)
	v_readfirstlane_b32 s16, v1
	s_and_b32 m0, s16, 0xffffff
	global_store_dwordx2 v[7:8], v[1:2], off
	s_sendmsg sendmsg(MSG_INTERRUPT)
.LBB0_20:                               ;   in Loop: Header=BB0_4 Depth=1
	s_or_b64 exec, exec, s[14:15]
	v_add_co_u32_e32 v3, vcc, v13, v32
	v_addc_co_u32_e32 v4, vcc, 0, v14, vcc
	s_branch .LBB0_24
.LBB0_21:                               ;   in Loop: Header=BB0_24 Depth=2
	s_or_b64 exec, exec, s[14:15]
	v_readfirstlane_b32 s14, v1
	s_cmp_eq_u32 s14, 0
	s_cbranch_scc1 .LBB0_23
; %bb.22:                               ;   in Loop: Header=BB0_24 Depth=2
	s_sleep 1
	s_cbranch_execnz .LBB0_24
	s_branch .LBB0_26
.LBB0_23:                               ;   in Loop: Header=BB0_4 Depth=1
	s_branch .LBB0_26
.LBB0_24:                               ;   Parent Loop BB0_4 Depth=1
                                        ; =>  This Inner Loop Header: Depth=2
	v_mov_b32_e32 v1, 1
	s_and_saveexec_b64 s[14:15], s[0:1]
	s_cbranch_execz .LBB0_21
; %bb.25:                               ;   in Loop: Header=BB0_24 Depth=2
	global_load_dword v1, v[11:12], off offset:20 glc
	s_waitcnt vmcnt(0)
	buffer_wbinvl1_vol
	v_and_b32_e32 v1, 1, v1
	s_branch .LBB0_21
.LBB0_26:                               ;   in Loop: Header=BB0_4 Depth=1
	global_load_dwordx2 v[11:12], v[3:4], off
	s_and_saveexec_b64 s[14:15], s[0:1]
	s_cbranch_execz .LBB0_30
; %bb.27:                               ;   in Loop: Header=BB0_4 Depth=1
	global_load_dwordx2 v[3:4], v2, s[2:3] offset:40
	global_load_dwordx2 v[15:16], v2, s[2:3] offset:24 glc
	global_load_dwordx2 v[7:8], v2, s[2:3]
	s_waitcnt vmcnt(2)
	v_readfirstlane_b32 s16, v3
	v_readfirstlane_b32 s17, v4
	s_add_u32 s18, s16, 1
	s_addc_u32 s19, s17, 0
	s_add_u32 s0, s18, s12
	s_addc_u32 s1, s19, s13
	s_cmp_eq_u64 s[0:1], 0
	s_cselect_b32 s1, s19, s1
	s_cselect_b32 s0, s18, s0
	s_and_b64 s[12:13], s[0:1], s[16:17]
	s_mul_i32 s13, s13, 24
	s_mul_hi_u32 s16, s12, 24
	s_mul_i32 s12, s12, 24
	s_add_i32 s13, s16, s13
	v_mov_b32_e32 v1, s13
	s_waitcnt vmcnt(0)
	v_add_co_u32_e32 v3, vcc, s12, v7
	v_addc_co_u32_e32 v4, vcc, v8, v1, vcc
	v_mov_b32_e32 v13, s0
	global_store_dwordx2 v[3:4], v[15:16], off
	v_mov_b32_e32 v14, s1
	s_waitcnt vmcnt(0)
	global_atomic_cmpswap_x2 v[9:10], v2, v[13:16], s[2:3] offset:24 glc
	s_waitcnt vmcnt(0)
	v_cmp_ne_u64_e32 vcc, v[9:10], v[15:16]
	s_and_b64 exec, exec, vcc
	s_cbranch_execz .LBB0_30
; %bb.28:                               ;   in Loop: Header=BB0_4 Depth=1
	s_mov_b64 s[12:13], 0
.LBB0_29:                               ;   Parent Loop BB0_4 Depth=1
                                        ; =>  This Inner Loop Header: Depth=2
	s_sleep 1
	global_store_dwordx2 v[3:4], v[9:10], off
	v_mov_b32_e32 v7, s0
	v_mov_b32_e32 v8, s1
	s_waitcnt vmcnt(0)
	global_atomic_cmpswap_x2 v[7:8], v2, v[7:10], s[2:3] offset:24 glc
	s_waitcnt vmcnt(0)
	v_cmp_eq_u64_e32 vcc, v[7:8], v[9:10]
	v_mov_b32_e32 v10, v8
	s_or_b64 s[12:13], vcc, s[12:13]
	v_mov_b32_e32 v9, v7
	s_andn2_b64 exec, exec, s[12:13]
	s_cbranch_execnz .LBB0_29
.LBB0_30:                               ;   in Loop: Header=BB0_4 Depth=1
	s_or_b64 exec, exec, s[14:15]
	s_and_b64 vcc, exec, s[4:5]
	s_cbranch_vccz .LBB0_202
; %bb.31:                               ;   in Loop: Header=BB0_4 Depth=1
	s_waitcnt vmcnt(0)
	v_and_b32_e32 v7, -3, v11
	v_mov_b32_e32 v8, v12
	s_mov_b64 s[14:15], 3
	s_getpc_b64 s[12:13]
	s_add_u32 s12, s12, .str@rel32@lo+4
	s_addc_u32 s13, s13, .str@rel32@hi+12
	s_branch .LBB0_33
.LBB0_32:                               ;   in Loop: Header=BB0_33 Depth=2
	s_or_b64 exec, exec, s[20:21]
	s_sub_u32 s14, s14, s16
	s_subb_u32 s15, s15, s17
	s_add_u32 s12, s12, s16
	s_addc_u32 s13, s13, s17
	s_cmp_lg_u64 s[14:15], 0
	s_cbranch_scc0 .LBB0_115
.LBB0_33:                               ;   Parent Loop BB0_4 Depth=1
                                        ; =>  This Loop Header: Depth=2
                                        ;       Child Loop BB0_36 Depth 3
                                        ;       Child Loop BB0_44 Depth 3
	;; [unrolled: 1-line block ×11, first 2 shown]
	v_cmp_lt_u64_e64 s[0:1], s[14:15], 56
	v_cmp_gt_u64_e64 s[18:19], s[14:15], 7
	s_and_b64 s[0:1], s[0:1], exec
	s_cselect_b32 s17, s15, 0
	s_cselect_b32 s16, s14, 56
	s_add_u32 s0, s12, 8
	s_addc_u32 s1, s13, 0
	s_and_b64 vcc, exec, s[18:19]
	s_cbranch_vccnz .LBB0_37
; %bb.34:                               ;   in Loop: Header=BB0_33 Depth=2
	s_cmp_eq_u64 s[14:15], 0
	s_cbranch_scc1 .LBB0_38
; %bb.35:                               ;   in Loop: Header=BB0_33 Depth=2
	v_mov_b32_e32 v9, 0
	s_lshl_b64 s[0:1], s[16:17], 3
	s_mov_b64 s[18:19], 0
	v_mov_b32_e32 v10, 0
	s_mov_b64 s[20:21], s[12:13]
.LBB0_36:                               ;   Parent Loop BB0_4 Depth=1
                                        ;     Parent Loop BB0_33 Depth=2
                                        ; =>    This Inner Loop Header: Depth=3
	global_load_ubyte v1, v2, s[20:21]
	s_waitcnt vmcnt(0)
	v_and_b32_e32 v1, 0xffff, v1
	v_lshlrev_b64 v[3:4], s18, v[1:2]
	s_add_u32 s18, s18, 8
	s_addc_u32 s19, s19, 0
	s_add_u32 s20, s20, 1
	s_addc_u32 s21, s21, 0
	v_or_b32_e32 v9, v3, v9
	s_cmp_lg_u32 s0, s18
	v_or_b32_e32 v10, v4, v10
	s_cbranch_scc1 .LBB0_36
	s_branch .LBB0_39
.LBB0_37:                               ;   in Loop: Header=BB0_33 Depth=2
	s_mov_b32 s22, 0
	s_branch .LBB0_40
.LBB0_38:                               ;   in Loop: Header=BB0_33 Depth=2
	v_mov_b32_e32 v9, 0
	v_mov_b32_e32 v10, 0
.LBB0_39:                               ;   in Loop: Header=BB0_33 Depth=2
	s_mov_b64 s[0:1], s[12:13]
	s_mov_b32 s22, 0
	s_cbranch_execnz .LBB0_41
.LBB0_40:                               ;   in Loop: Header=BB0_33 Depth=2
	global_load_dwordx2 v[9:10], v2, s[12:13]
	s_add_i32 s22, s16, -8
.LBB0_41:                               ;   in Loop: Header=BB0_33 Depth=2
	s_add_u32 s18, s0, 8
	s_addc_u32 s19, s1, 0
	s_cmp_gt_u32 s22, 7
	s_cbranch_scc1 .LBB0_45
; %bb.42:                               ;   in Loop: Header=BB0_33 Depth=2
	s_cmp_eq_u32 s22, 0
	s_cbranch_scc1 .LBB0_46
; %bb.43:                               ;   in Loop: Header=BB0_33 Depth=2
	v_mov_b32_e32 v13, 0
	s_mov_b64 s[18:19], 0
	v_mov_b32_e32 v14, 0
	s_mov_b64 s[20:21], 0
.LBB0_44:                               ;   Parent Loop BB0_4 Depth=1
                                        ;     Parent Loop BB0_33 Depth=2
                                        ; =>    This Inner Loop Header: Depth=3
	s_add_u32 s24, s0, s20
	s_addc_u32 s25, s1, s21
	global_load_ubyte v1, v2, s[24:25]
	s_add_u32 s20, s20, 1
	s_addc_u32 s21, s21, 0
	s_waitcnt vmcnt(0)
	v_and_b32_e32 v1, 0xffff, v1
	v_lshlrev_b64 v[3:4], s18, v[1:2]
	s_add_u32 s18, s18, 8
	s_addc_u32 s19, s19, 0
	v_or_b32_e32 v13, v3, v13
	s_cmp_lg_u32 s22, s20
	v_or_b32_e32 v14, v4, v14
	s_cbranch_scc1 .LBB0_44
	s_branch .LBB0_47
.LBB0_45:                               ;   in Loop: Header=BB0_33 Depth=2
                                        ; implicit-def: $vgpr13_vgpr14
	s_mov_b32 s23, 0
	s_branch .LBB0_48
.LBB0_46:                               ;   in Loop: Header=BB0_33 Depth=2
	v_mov_b32_e32 v13, 0
	v_mov_b32_e32 v14, 0
.LBB0_47:                               ;   in Loop: Header=BB0_33 Depth=2
	s_mov_b64 s[18:19], s[0:1]
	s_mov_b32 s23, 0
	s_cbranch_execnz .LBB0_49
.LBB0_48:                               ;   in Loop: Header=BB0_33 Depth=2
	global_load_dwordx2 v[13:14], v2, s[0:1]
	s_add_i32 s23, s22, -8
.LBB0_49:                               ;   in Loop: Header=BB0_33 Depth=2
	s_add_u32 s0, s18, 8
	s_addc_u32 s1, s19, 0
	s_cmp_gt_u32 s23, 7
	s_cbranch_scc1 .LBB0_53
; %bb.50:                               ;   in Loop: Header=BB0_33 Depth=2
	s_cmp_eq_u32 s23, 0
	s_cbranch_scc1 .LBB0_54
; %bb.51:                               ;   in Loop: Header=BB0_33 Depth=2
	v_mov_b32_e32 v15, 0
	s_mov_b64 s[0:1], 0
	v_mov_b32_e32 v16, 0
	s_mov_b64 s[20:21], 0
.LBB0_52:                               ;   Parent Loop BB0_4 Depth=1
                                        ;     Parent Loop BB0_33 Depth=2
                                        ; =>    This Inner Loop Header: Depth=3
	s_add_u32 s24, s18, s20
	s_addc_u32 s25, s19, s21
	global_load_ubyte v1, v2, s[24:25]
	s_add_u32 s20, s20, 1
	s_addc_u32 s21, s21, 0
	s_waitcnt vmcnt(0)
	v_and_b32_e32 v1, 0xffff, v1
	v_lshlrev_b64 v[3:4], s0, v[1:2]
	s_add_u32 s0, s0, 8
	s_addc_u32 s1, s1, 0
	v_or_b32_e32 v15, v3, v15
	s_cmp_lg_u32 s23, s20
	v_or_b32_e32 v16, v4, v16
	s_cbranch_scc1 .LBB0_52
	s_branch .LBB0_55
.LBB0_53:                               ;   in Loop: Header=BB0_33 Depth=2
	s_mov_b32 s22, 0
	s_branch .LBB0_56
.LBB0_54:                               ;   in Loop: Header=BB0_33 Depth=2
	v_mov_b32_e32 v15, 0
	v_mov_b32_e32 v16, 0
.LBB0_55:                               ;   in Loop: Header=BB0_33 Depth=2
	s_mov_b64 s[0:1], s[18:19]
	s_mov_b32 s22, 0
	s_cbranch_execnz .LBB0_57
.LBB0_56:                               ;   in Loop: Header=BB0_33 Depth=2
	global_load_dwordx2 v[15:16], v2, s[18:19]
	s_add_i32 s22, s23, -8
.LBB0_57:                               ;   in Loop: Header=BB0_33 Depth=2
	s_add_u32 s18, s0, 8
	s_addc_u32 s19, s1, 0
	s_cmp_gt_u32 s22, 7
	s_cbranch_scc1 .LBB0_61
; %bb.58:                               ;   in Loop: Header=BB0_33 Depth=2
	s_cmp_eq_u32 s22, 0
	s_cbranch_scc1 .LBB0_62
; %bb.59:                               ;   in Loop: Header=BB0_33 Depth=2
	v_mov_b32_e32 v17, 0
	s_mov_b64 s[18:19], 0
	v_mov_b32_e32 v18, 0
	s_mov_b64 s[20:21], 0
.LBB0_60:                               ;   Parent Loop BB0_4 Depth=1
                                        ;     Parent Loop BB0_33 Depth=2
                                        ; =>    This Inner Loop Header: Depth=3
	s_add_u32 s24, s0, s20
	s_addc_u32 s25, s1, s21
	global_load_ubyte v1, v2, s[24:25]
	s_add_u32 s20, s20, 1
	s_addc_u32 s21, s21, 0
	s_waitcnt vmcnt(0)
	v_and_b32_e32 v1, 0xffff, v1
	v_lshlrev_b64 v[3:4], s18, v[1:2]
	s_add_u32 s18, s18, 8
	s_addc_u32 s19, s19, 0
	v_or_b32_e32 v17, v3, v17
	s_cmp_lg_u32 s22, s20
	v_or_b32_e32 v18, v4, v18
	s_cbranch_scc1 .LBB0_60
	s_branch .LBB0_63
.LBB0_61:                               ;   in Loop: Header=BB0_33 Depth=2
                                        ; implicit-def: $vgpr17_vgpr18
	s_mov_b32 s23, 0
	s_branch .LBB0_64
.LBB0_62:                               ;   in Loop: Header=BB0_33 Depth=2
	v_mov_b32_e32 v17, 0
	v_mov_b32_e32 v18, 0
.LBB0_63:                               ;   in Loop: Header=BB0_33 Depth=2
	s_mov_b64 s[18:19], s[0:1]
	s_mov_b32 s23, 0
	s_cbranch_execnz .LBB0_65
.LBB0_64:                               ;   in Loop: Header=BB0_33 Depth=2
	global_load_dwordx2 v[17:18], v2, s[0:1]
	s_add_i32 s23, s22, -8
.LBB0_65:                               ;   in Loop: Header=BB0_33 Depth=2
	s_add_u32 s0, s18, 8
	s_addc_u32 s1, s19, 0
	s_cmp_gt_u32 s23, 7
	s_cbranch_scc1 .LBB0_69
; %bb.66:                               ;   in Loop: Header=BB0_33 Depth=2
	s_cmp_eq_u32 s23, 0
	s_cbranch_scc1 .LBB0_70
; %bb.67:                               ;   in Loop: Header=BB0_33 Depth=2
	v_mov_b32_e32 v19, 0
	s_mov_b64 s[0:1], 0
	v_mov_b32_e32 v20, 0
	s_mov_b64 s[20:21], 0
.LBB0_68:                               ;   Parent Loop BB0_4 Depth=1
                                        ;     Parent Loop BB0_33 Depth=2
                                        ; =>    This Inner Loop Header: Depth=3
	s_add_u32 s24, s18, s20
	s_addc_u32 s25, s19, s21
	global_load_ubyte v1, v2, s[24:25]
	s_add_u32 s20, s20, 1
	s_addc_u32 s21, s21, 0
	s_waitcnt vmcnt(0)
	v_and_b32_e32 v1, 0xffff, v1
	v_lshlrev_b64 v[3:4], s0, v[1:2]
	s_add_u32 s0, s0, 8
	s_addc_u32 s1, s1, 0
	v_or_b32_e32 v19, v3, v19
	s_cmp_lg_u32 s23, s20
	v_or_b32_e32 v20, v4, v20
	s_cbranch_scc1 .LBB0_68
	s_branch .LBB0_71
.LBB0_69:                               ;   in Loop: Header=BB0_33 Depth=2
	s_mov_b32 s22, 0
	s_branch .LBB0_72
.LBB0_70:                               ;   in Loop: Header=BB0_33 Depth=2
	v_mov_b32_e32 v19, 0
	v_mov_b32_e32 v20, 0
.LBB0_71:                               ;   in Loop: Header=BB0_33 Depth=2
	s_mov_b64 s[0:1], s[18:19]
	s_mov_b32 s22, 0
	s_cbranch_execnz .LBB0_73
.LBB0_72:                               ;   in Loop: Header=BB0_33 Depth=2
	global_load_dwordx2 v[19:20], v2, s[18:19]
	s_add_i32 s22, s23, -8
.LBB0_73:                               ;   in Loop: Header=BB0_33 Depth=2
	s_add_u32 s18, s0, 8
	s_addc_u32 s19, s1, 0
	s_cmp_gt_u32 s22, 7
	s_cbranch_scc1 .LBB0_77
; %bb.74:                               ;   in Loop: Header=BB0_33 Depth=2
	s_cmp_eq_u32 s22, 0
	s_cbranch_scc1 .LBB0_78
; %bb.75:                               ;   in Loop: Header=BB0_33 Depth=2
	v_mov_b32_e32 v21, 0
	s_mov_b64 s[18:19], 0
	v_mov_b32_e32 v22, 0
	s_mov_b64 s[20:21], 0
.LBB0_76:                               ;   Parent Loop BB0_4 Depth=1
                                        ;     Parent Loop BB0_33 Depth=2
                                        ; =>    This Inner Loop Header: Depth=3
	s_add_u32 s24, s0, s20
	s_addc_u32 s25, s1, s21
	global_load_ubyte v1, v2, s[24:25]
	s_add_u32 s20, s20, 1
	s_addc_u32 s21, s21, 0
	s_waitcnt vmcnt(0)
	v_and_b32_e32 v1, 0xffff, v1
	v_lshlrev_b64 v[3:4], s18, v[1:2]
	s_add_u32 s18, s18, 8
	s_addc_u32 s19, s19, 0
	v_or_b32_e32 v21, v3, v21
	s_cmp_lg_u32 s22, s20
	v_or_b32_e32 v22, v4, v22
	s_cbranch_scc1 .LBB0_76
	s_branch .LBB0_79
.LBB0_77:                               ;   in Loop: Header=BB0_33 Depth=2
                                        ; implicit-def: $vgpr21_vgpr22
	s_mov_b32 s23, 0
	s_branch .LBB0_80
.LBB0_78:                               ;   in Loop: Header=BB0_33 Depth=2
	v_mov_b32_e32 v21, 0
	v_mov_b32_e32 v22, 0
.LBB0_79:                               ;   in Loop: Header=BB0_33 Depth=2
	s_mov_b64 s[18:19], s[0:1]
	s_mov_b32 s23, 0
	s_cbranch_execnz .LBB0_81
.LBB0_80:                               ;   in Loop: Header=BB0_33 Depth=2
	global_load_dwordx2 v[21:22], v2, s[0:1]
	s_add_i32 s23, s22, -8
.LBB0_81:                               ;   in Loop: Header=BB0_33 Depth=2
	s_cmp_gt_u32 s23, 7
	s_cbranch_scc1 .LBB0_85
; %bb.82:                               ;   in Loop: Header=BB0_33 Depth=2
	s_cmp_eq_u32 s23, 0
	s_cbranch_scc1 .LBB0_86
; %bb.83:                               ;   in Loop: Header=BB0_33 Depth=2
	v_mov_b32_e32 v23, 0
	s_mov_b64 s[0:1], 0
	v_mov_b32_e32 v24, 0
	s_mov_b64 s[20:21], s[18:19]
.LBB0_84:                               ;   Parent Loop BB0_4 Depth=1
                                        ;     Parent Loop BB0_33 Depth=2
                                        ; =>    This Inner Loop Header: Depth=3
	global_load_ubyte v1, v2, s[20:21]
	s_add_i32 s23, s23, -1
	s_waitcnt vmcnt(0)
	v_and_b32_e32 v1, 0xffff, v1
	v_lshlrev_b64 v[3:4], s0, v[1:2]
	s_add_u32 s0, s0, 8
	s_addc_u32 s1, s1, 0
	s_add_u32 s20, s20, 1
	s_addc_u32 s21, s21, 0
	v_or_b32_e32 v23, v3, v23
	s_cmp_lg_u32 s23, 0
	v_or_b32_e32 v24, v4, v24
	s_cbranch_scc1 .LBB0_84
	s_branch .LBB0_87
.LBB0_85:                               ;   in Loop: Header=BB0_33 Depth=2
	s_branch .LBB0_88
.LBB0_86:                               ;   in Loop: Header=BB0_33 Depth=2
	v_mov_b32_e32 v23, 0
	v_mov_b32_e32 v24, 0
.LBB0_87:                               ;   in Loop: Header=BB0_33 Depth=2
	s_cbranch_execnz .LBB0_89
.LBB0_88:                               ;   in Loop: Header=BB0_33 Depth=2
	global_load_dwordx2 v[23:24], v2, s[18:19]
.LBB0_89:                               ;   in Loop: Header=BB0_33 Depth=2
	v_readfirstlane_b32 s0, v31
	v_mov_b32_e32 v3, 0
	v_mov_b32_e32 v4, 0
	v_cmp_eq_u32_e64 s[0:1], s0, v31
	s_and_saveexec_b64 s[18:19], s[0:1]
	s_cbranch_execz .LBB0_95
; %bb.90:                               ;   in Loop: Header=BB0_33 Depth=2
	global_load_dwordx2 v[27:28], v2, s[2:3] offset:24 glc
	s_waitcnt vmcnt(0)
	buffer_wbinvl1_vol
	global_load_dwordx2 v[3:4], v2, s[2:3] offset:40
	global_load_dwordx2 v[25:26], v2, s[2:3]
	s_waitcnt vmcnt(1)
	v_and_b32_e32 v1, v3, v27
	v_and_b32_e32 v3, v4, v28
	v_mul_lo_u32 v3, v3, 24
	v_mul_hi_u32 v4, v1, 24
	v_mul_lo_u32 v1, v1, 24
	v_add_u32_e32 v4, v4, v3
	s_waitcnt vmcnt(0)
	v_add_co_u32_e32 v3, vcc, v25, v1
	v_addc_co_u32_e32 v4, vcc, v26, v4, vcc
	global_load_dwordx2 v[25:26], v[3:4], off glc
	s_waitcnt vmcnt(0)
	global_atomic_cmpswap_x2 v[3:4], v2, v[25:28], s[2:3] offset:24 glc
	s_waitcnt vmcnt(0)
	buffer_wbinvl1_vol
	v_cmp_ne_u64_e32 vcc, v[3:4], v[27:28]
	s_and_saveexec_b64 s[20:21], vcc
	s_cbranch_execz .LBB0_94
; %bb.91:                               ;   in Loop: Header=BB0_33 Depth=2
	s_mov_b64 s[22:23], 0
.LBB0_92:                               ;   Parent Loop BB0_4 Depth=1
                                        ;     Parent Loop BB0_33 Depth=2
                                        ; =>    This Inner Loop Header: Depth=3
	s_sleep 1
	global_load_dwordx2 v[25:26], v2, s[2:3] offset:40
	global_load_dwordx2 v[29:30], v2, s[2:3]
	v_mov_b32_e32 v28, v4
	v_mov_b32_e32 v27, v3
	s_waitcnt vmcnt(1)
	v_and_b32_e32 v1, v25, v27
	s_waitcnt vmcnt(0)
	v_mad_u64_u32 v[3:4], s[24:25], v1, 24, v[29:30]
	v_and_b32_e32 v25, v26, v28
	v_mov_b32_e32 v1, v4
	v_mad_u64_u32 v[25:26], s[24:25], v25, 24, v[1:2]
	v_mov_b32_e32 v4, v25
	global_load_dwordx2 v[25:26], v[3:4], off glc
	s_waitcnt vmcnt(0)
	global_atomic_cmpswap_x2 v[3:4], v2, v[25:28], s[2:3] offset:24 glc
	s_waitcnt vmcnt(0)
	buffer_wbinvl1_vol
	v_cmp_eq_u64_e32 vcc, v[3:4], v[27:28]
	s_or_b64 s[22:23], vcc, s[22:23]
	s_andn2_b64 exec, exec, s[22:23]
	s_cbranch_execnz .LBB0_92
; %bb.93:                               ;   in Loop: Header=BB0_33 Depth=2
	s_or_b64 exec, exec, s[22:23]
.LBB0_94:                               ;   in Loop: Header=BB0_33 Depth=2
	s_or_b64 exec, exec, s[20:21]
.LBB0_95:                               ;   in Loop: Header=BB0_33 Depth=2
	s_or_b64 exec, exec, s[18:19]
	global_load_dwordx2 v[29:30], v2, s[2:3] offset:40
	global_load_dwordx4 v[25:28], v2, s[2:3]
	v_readfirstlane_b32 s19, v4
	v_readfirstlane_b32 s18, v3
	s_mov_b64 s[20:21], exec
	s_waitcnt vmcnt(1)
	v_readfirstlane_b32 s22, v29
	v_readfirstlane_b32 s23, v30
	s_and_b64 s[22:23], s[22:23], s[18:19]
	s_mul_i32 s24, s23, 24
	s_mul_hi_u32 s25, s22, 24
	s_mul_i32 s30, s22, 24
	s_add_i32 s24, s25, s24
	v_mov_b32_e32 v1, s24
	s_waitcnt vmcnt(0)
	v_add_co_u32_e32 v29, vcc, s30, v25
	v_addc_co_u32_e32 v30, vcc, v26, v1, vcc
	s_and_saveexec_b64 s[24:25], s[0:1]
	s_cbranch_execz .LBB0_97
; %bb.96:                               ;   in Loop: Header=BB0_33 Depth=2
	v_mov_b32_e32 v3, s20
	v_mov_b32_e32 v4, s21
	global_store_dwordx4 v[29:30], v[3:6], off offset:8
.LBB0_97:                               ;   in Loop: Header=BB0_33 Depth=2
	s_or_b64 exec, exec, s[24:25]
	s_lshl_b64 s[20:21], s[22:23], 12
	v_mov_b32_e32 v1, s21
	v_add_co_u32_e32 v27, vcc, s20, v27
	v_addc_co_u32_e32 v28, vcc, v28, v1, vcc
	v_cmp_lt_u64_e64 vcc, s[14:15], 57
	v_and_b32_e32 v1, 2, v11
	s_lshl_b32 s20, s16, 2
	v_cndmask_b32_e32 v1, 0, v1, vcc
	s_add_i32 s20, s20, 28
	v_and_b32_e32 v3, 0xffffff1f, v7
	s_and_b32 s20, s20, 0x1e0
	v_or_b32_e32 v1, v3, v1
	v_or_b32_e32 v7, s20, v1
	v_readfirstlane_b32 s20, v27
	v_readfirstlane_b32 s21, v28
	s_nop 4
	global_store_dwordx4 v32, v[7:10], s[20:21]
	global_store_dwordx4 v32, v[13:16], s[20:21] offset:16
	global_store_dwordx4 v32, v[17:20], s[20:21] offset:32
	;; [unrolled: 1-line block ×3, first 2 shown]
	s_and_saveexec_b64 s[20:21], s[0:1]
	s_cbranch_execz .LBB0_105
; %bb.98:                               ;   in Loop: Header=BB0_33 Depth=2
	global_load_dwordx2 v[15:16], v2, s[2:3] offset:32 glc
	global_load_dwordx2 v[3:4], v2, s[2:3] offset:40
	v_mov_b32_e32 v13, s18
	v_mov_b32_e32 v14, s19
	s_waitcnt vmcnt(0)
	v_readfirstlane_b32 s22, v3
	v_readfirstlane_b32 s23, v4
	s_and_b64 s[22:23], s[22:23], s[18:19]
	s_mul_i32 s23, s23, 24
	s_mul_hi_u32 s24, s22, 24
	s_mul_i32 s22, s22, 24
	s_add_i32 s23, s24, s23
	v_mov_b32_e32 v1, s23
	v_add_co_u32_e32 v3, vcc, s22, v25
	v_addc_co_u32_e32 v4, vcc, v26, v1, vcc
	global_store_dwordx2 v[3:4], v[15:16], off
	s_waitcnt vmcnt(0)
	global_atomic_cmpswap_x2 v[9:10], v2, v[13:16], s[2:3] offset:32 glc
	s_waitcnt vmcnt(0)
	v_cmp_ne_u64_e32 vcc, v[9:10], v[15:16]
	s_and_saveexec_b64 s[22:23], vcc
	s_cbranch_execz .LBB0_101
; %bb.99:                               ;   in Loop: Header=BB0_33 Depth=2
	s_mov_b64 s[24:25], 0
.LBB0_100:                              ;   Parent Loop BB0_4 Depth=1
                                        ;     Parent Loop BB0_33 Depth=2
                                        ; =>    This Inner Loop Header: Depth=3
	s_sleep 1
	global_store_dwordx2 v[3:4], v[9:10], off
	v_mov_b32_e32 v7, s18
	v_mov_b32_e32 v8, s19
	s_waitcnt vmcnt(0)
	global_atomic_cmpswap_x2 v[7:8], v2, v[7:10], s[2:3] offset:32 glc
	s_waitcnt vmcnt(0)
	v_cmp_eq_u64_e32 vcc, v[7:8], v[9:10]
	v_mov_b32_e32 v10, v8
	s_or_b64 s[24:25], vcc, s[24:25]
	v_mov_b32_e32 v9, v7
	s_andn2_b64 exec, exec, s[24:25]
	s_cbranch_execnz .LBB0_100
.LBB0_101:                              ;   in Loop: Header=BB0_33 Depth=2
	s_or_b64 exec, exec, s[22:23]
	global_load_dwordx2 v[3:4], v2, s[2:3] offset:16
	s_mov_b64 s[24:25], exec
	v_mbcnt_lo_u32_b32 v1, s24, 0
	v_mbcnt_hi_u32_b32 v1, s25, v1
	v_cmp_eq_u32_e32 vcc, 0, v1
	s_and_saveexec_b64 s[22:23], vcc
	s_cbranch_execz .LBB0_103
; %bb.102:                              ;   in Loop: Header=BB0_33 Depth=2
	s_bcnt1_i32_b64 s24, s[24:25]
	v_mov_b32_e32 v1, s24
	s_waitcnt vmcnt(0)
	global_atomic_add_x2 v[3:4], v[1:2], off offset:8
.LBB0_103:                              ;   in Loop: Header=BB0_33 Depth=2
	s_or_b64 exec, exec, s[22:23]
	s_waitcnt vmcnt(0)
	global_load_dwordx2 v[7:8], v[3:4], off offset:16
	s_waitcnt vmcnt(0)
	v_cmp_eq_u64_e32 vcc, 0, v[7:8]
	s_cbranch_vccnz .LBB0_105
; %bb.104:                              ;   in Loop: Header=BB0_33 Depth=2
	global_load_dword v1, v[3:4], off offset:24
	s_waitcnt vmcnt(0)
	v_readfirstlane_b32 s22, v1
	s_and_b32 m0, s22, 0xffffff
	global_store_dwordx2 v[7:8], v[1:2], off
	s_sendmsg sendmsg(MSG_INTERRUPT)
.LBB0_105:                              ;   in Loop: Header=BB0_33 Depth=2
	s_or_b64 exec, exec, s[20:21]
	v_add_co_u32_e32 v3, vcc, v27, v32
	v_addc_co_u32_e32 v4, vcc, 0, v28, vcc
	s_branch .LBB0_109
.LBB0_106:                              ;   in Loop: Header=BB0_109 Depth=3
	s_or_b64 exec, exec, s[20:21]
	v_readfirstlane_b32 s20, v1
	s_cmp_eq_u32 s20, 0
	s_cbranch_scc1 .LBB0_108
; %bb.107:                              ;   in Loop: Header=BB0_109 Depth=3
	s_sleep 1
	s_cbranch_execnz .LBB0_109
	s_branch .LBB0_111
.LBB0_108:                              ;   in Loop: Header=BB0_33 Depth=2
	s_branch .LBB0_111
.LBB0_109:                              ;   Parent Loop BB0_4 Depth=1
                                        ;     Parent Loop BB0_33 Depth=2
                                        ; =>    This Inner Loop Header: Depth=3
	v_mov_b32_e32 v1, 1
	s_and_saveexec_b64 s[20:21], s[0:1]
	s_cbranch_execz .LBB0_106
; %bb.110:                              ;   in Loop: Header=BB0_109 Depth=3
	global_load_dword v1, v[29:30], off offset:20 glc
	s_waitcnt vmcnt(0)
	buffer_wbinvl1_vol
	v_and_b32_e32 v1, 1, v1
	s_branch .LBB0_106
.LBB0_111:                              ;   in Loop: Header=BB0_33 Depth=2
	global_load_dwordx2 v[7:8], v[3:4], off
	s_and_saveexec_b64 s[20:21], s[0:1]
	s_cbranch_execz .LBB0_32
; %bb.112:                              ;   in Loop: Header=BB0_33 Depth=2
	global_load_dwordx2 v[3:4], v2, s[2:3] offset:40
	global_load_dwordx2 v[17:18], v2, s[2:3] offset:24 glc
	global_load_dwordx2 v[9:10], v2, s[2:3]
	s_waitcnt vmcnt(2)
	v_readfirstlane_b32 s22, v3
	v_readfirstlane_b32 s23, v4
	s_add_u32 s24, s22, 1
	s_addc_u32 s25, s23, 0
	s_add_u32 s0, s24, s18
	s_addc_u32 s1, s25, s19
	s_cmp_eq_u64 s[0:1], 0
	s_cselect_b32 s1, s25, s1
	s_cselect_b32 s0, s24, s0
	s_and_b64 s[18:19], s[0:1], s[22:23]
	s_mul_i32 s19, s19, 24
	s_mul_hi_u32 s22, s18, 24
	s_mul_i32 s18, s18, 24
	s_add_i32 s19, s22, s19
	v_mov_b32_e32 v1, s19
	s_waitcnt vmcnt(0)
	v_add_co_u32_e32 v3, vcc, s18, v9
	v_addc_co_u32_e32 v4, vcc, v10, v1, vcc
	v_mov_b32_e32 v15, s0
	global_store_dwordx2 v[3:4], v[17:18], off
	v_mov_b32_e32 v16, s1
	s_waitcnt vmcnt(0)
	global_atomic_cmpswap_x2 v[15:16], v2, v[15:18], s[2:3] offset:24 glc
	s_waitcnt vmcnt(0)
	v_cmp_ne_u64_e32 vcc, v[15:16], v[17:18]
	s_and_b64 exec, exec, vcc
	s_cbranch_execz .LBB0_32
; %bb.113:                              ;   in Loop: Header=BB0_33 Depth=2
	s_mov_b64 s[18:19], 0
.LBB0_114:                              ;   Parent Loop BB0_4 Depth=1
                                        ;     Parent Loop BB0_33 Depth=2
                                        ; =>    This Inner Loop Header: Depth=3
	s_sleep 1
	global_store_dwordx2 v[3:4], v[15:16], off
	v_mov_b32_e32 v13, s0
	v_mov_b32_e32 v14, s1
	s_waitcnt vmcnt(0)
	global_atomic_cmpswap_x2 v[9:10], v2, v[13:16], s[2:3] offset:24 glc
	s_waitcnt vmcnt(0)
	v_cmp_eq_u64_e32 vcc, v[9:10], v[15:16]
	v_mov_b32_e32 v16, v10
	s_or_b64 s[18:19], vcc, s[18:19]
	v_mov_b32_e32 v15, v9
	s_andn2_b64 exec, exec, s[18:19]
	s_cbranch_execnz .LBB0_114
	s_branch .LBB0_32
.LBB0_115:                              ;   in Loop: Header=BB0_4 Depth=1
.LBB0_116:                              ;   in Loop: Header=BB0_4 Depth=1
	s_and_b64 vcc, exec, s[6:7]
	s_cbranch_vccz .LBB0_230
.LBB0_117:                              ;   in Loop: Header=BB0_4 Depth=1
	s_waitcnt vmcnt(0)
	v_and_b32_e32 v9, -3, v7
	v_mov_b32_e32 v10, v8
	s_mov_b64 s[14:15], 56
	s_getpc_b64 s[12:13]
	s_add_u32 s12, s12, .str.1@rel32@lo+4
	s_addc_u32 s13, s13, .str.1@rel32@hi+12
	s_branch .LBB0_119
.LBB0_118:                              ;   in Loop: Header=BB0_119 Depth=2
	s_or_b64 exec, exec, s[20:21]
	s_sub_u32 s14, s14, s16
	s_subb_u32 s15, s15, s17
	s_add_u32 s12, s12, s16
	s_addc_u32 s13, s13, s17
	s_cmp_lg_u64 s[14:15], 0
	s_cbranch_scc0 .LBB0_201
.LBB0_119:                              ;   Parent Loop BB0_4 Depth=1
                                        ; =>  This Loop Header: Depth=2
                                        ;       Child Loop BB0_122 Depth 3
                                        ;       Child Loop BB0_130 Depth 3
	;; [unrolled: 1-line block ×11, first 2 shown]
	v_cmp_lt_u64_e64 s[0:1], s[14:15], 56
	v_cmp_gt_u64_e64 s[18:19], s[14:15], 7
	s_and_b64 s[0:1], s[0:1], exec
	s_cselect_b32 s17, s15, 0
	s_cselect_b32 s16, s14, 56
	s_add_u32 s0, s12, 8
	s_addc_u32 s1, s13, 0
	s_and_b64 vcc, exec, s[18:19]
	s_cbranch_vccnz .LBB0_123
; %bb.120:                              ;   in Loop: Header=BB0_119 Depth=2
	s_cmp_eq_u64 s[14:15], 0
	s_cbranch_scc1 .LBB0_124
; %bb.121:                              ;   in Loop: Header=BB0_119 Depth=2
	s_waitcnt vmcnt(0)
	v_mov_b32_e32 v11, 0
	s_lshl_b64 s[0:1], s[16:17], 3
	s_mov_b64 s[18:19], 0
	v_mov_b32_e32 v12, 0
	s_mov_b64 s[20:21], s[12:13]
.LBB0_122:                              ;   Parent Loop BB0_4 Depth=1
                                        ;     Parent Loop BB0_119 Depth=2
                                        ; =>    This Inner Loop Header: Depth=3
	global_load_ubyte v1, v2, s[20:21]
	s_waitcnt vmcnt(0)
	v_and_b32_e32 v1, 0xffff, v1
	v_lshlrev_b64 v[3:4], s18, v[1:2]
	s_add_u32 s18, s18, 8
	s_addc_u32 s19, s19, 0
	s_add_u32 s20, s20, 1
	s_addc_u32 s21, s21, 0
	v_or_b32_e32 v11, v3, v11
	s_cmp_lg_u32 s0, s18
	v_or_b32_e32 v12, v4, v12
	s_cbranch_scc1 .LBB0_122
	s_branch .LBB0_125
.LBB0_123:                              ;   in Loop: Header=BB0_119 Depth=2
	s_mov_b32 s22, 0
	s_branch .LBB0_126
.LBB0_124:                              ;   in Loop: Header=BB0_119 Depth=2
	s_waitcnt vmcnt(0)
	v_mov_b32_e32 v11, 0
	v_mov_b32_e32 v12, 0
.LBB0_125:                              ;   in Loop: Header=BB0_119 Depth=2
	s_mov_b64 s[0:1], s[12:13]
	s_mov_b32 s22, 0
	s_cbranch_execnz .LBB0_127
.LBB0_126:                              ;   in Loop: Header=BB0_119 Depth=2
	global_load_dwordx2 v[11:12], v2, s[12:13]
	s_add_i32 s22, s16, -8
.LBB0_127:                              ;   in Loop: Header=BB0_119 Depth=2
	s_add_u32 s18, s0, 8
	s_addc_u32 s19, s1, 0
	s_cmp_gt_u32 s22, 7
	s_cbranch_scc1 .LBB0_131
; %bb.128:                              ;   in Loop: Header=BB0_119 Depth=2
	s_cmp_eq_u32 s22, 0
	s_cbranch_scc1 .LBB0_132
; %bb.129:                              ;   in Loop: Header=BB0_119 Depth=2
	v_mov_b32_e32 v13, 0
	s_mov_b64 s[18:19], 0
	v_mov_b32_e32 v14, 0
	s_mov_b64 s[20:21], 0
.LBB0_130:                              ;   Parent Loop BB0_4 Depth=1
                                        ;     Parent Loop BB0_119 Depth=2
                                        ; =>    This Inner Loop Header: Depth=3
	s_add_u32 s24, s0, s20
	s_addc_u32 s25, s1, s21
	global_load_ubyte v1, v2, s[24:25]
	s_add_u32 s20, s20, 1
	s_addc_u32 s21, s21, 0
	s_waitcnt vmcnt(0)
	v_and_b32_e32 v1, 0xffff, v1
	v_lshlrev_b64 v[3:4], s18, v[1:2]
	s_add_u32 s18, s18, 8
	s_addc_u32 s19, s19, 0
	v_or_b32_e32 v13, v3, v13
	s_cmp_lg_u32 s22, s20
	v_or_b32_e32 v14, v4, v14
	s_cbranch_scc1 .LBB0_130
	s_branch .LBB0_133
.LBB0_131:                              ;   in Loop: Header=BB0_119 Depth=2
                                        ; implicit-def: $vgpr13_vgpr14
	s_mov_b32 s23, 0
	s_branch .LBB0_134
.LBB0_132:                              ;   in Loop: Header=BB0_119 Depth=2
	v_mov_b32_e32 v13, 0
	v_mov_b32_e32 v14, 0
.LBB0_133:                              ;   in Loop: Header=BB0_119 Depth=2
	s_mov_b64 s[18:19], s[0:1]
	s_mov_b32 s23, 0
	s_cbranch_execnz .LBB0_135
.LBB0_134:                              ;   in Loop: Header=BB0_119 Depth=2
	global_load_dwordx2 v[13:14], v2, s[0:1]
	s_add_i32 s23, s22, -8
.LBB0_135:                              ;   in Loop: Header=BB0_119 Depth=2
	s_add_u32 s0, s18, 8
	s_addc_u32 s1, s19, 0
	s_cmp_gt_u32 s23, 7
	s_cbranch_scc1 .LBB0_139
; %bb.136:                              ;   in Loop: Header=BB0_119 Depth=2
	s_cmp_eq_u32 s23, 0
	s_cbranch_scc1 .LBB0_140
; %bb.137:                              ;   in Loop: Header=BB0_119 Depth=2
	v_mov_b32_e32 v15, 0
	s_mov_b64 s[0:1], 0
	v_mov_b32_e32 v16, 0
	s_mov_b64 s[20:21], 0
.LBB0_138:                              ;   Parent Loop BB0_4 Depth=1
                                        ;     Parent Loop BB0_119 Depth=2
                                        ; =>    This Inner Loop Header: Depth=3
	s_add_u32 s24, s18, s20
	s_addc_u32 s25, s19, s21
	global_load_ubyte v1, v2, s[24:25]
	s_add_u32 s20, s20, 1
	s_addc_u32 s21, s21, 0
	s_waitcnt vmcnt(0)
	v_and_b32_e32 v1, 0xffff, v1
	v_lshlrev_b64 v[3:4], s0, v[1:2]
	s_add_u32 s0, s0, 8
	s_addc_u32 s1, s1, 0
	v_or_b32_e32 v15, v3, v15
	s_cmp_lg_u32 s23, s20
	v_or_b32_e32 v16, v4, v16
	s_cbranch_scc1 .LBB0_138
	s_branch .LBB0_141
.LBB0_139:                              ;   in Loop: Header=BB0_119 Depth=2
	s_mov_b32 s22, 0
	s_branch .LBB0_142
.LBB0_140:                              ;   in Loop: Header=BB0_119 Depth=2
	v_mov_b32_e32 v15, 0
	v_mov_b32_e32 v16, 0
.LBB0_141:                              ;   in Loop: Header=BB0_119 Depth=2
	s_mov_b64 s[0:1], s[18:19]
	s_mov_b32 s22, 0
	s_cbranch_execnz .LBB0_143
.LBB0_142:                              ;   in Loop: Header=BB0_119 Depth=2
	global_load_dwordx2 v[15:16], v2, s[18:19]
	s_add_i32 s22, s23, -8
.LBB0_143:                              ;   in Loop: Header=BB0_119 Depth=2
	s_add_u32 s18, s0, 8
	s_addc_u32 s19, s1, 0
	s_cmp_gt_u32 s22, 7
	s_cbranch_scc1 .LBB0_147
; %bb.144:                              ;   in Loop: Header=BB0_119 Depth=2
	s_cmp_eq_u32 s22, 0
	s_cbranch_scc1 .LBB0_148
; %bb.145:                              ;   in Loop: Header=BB0_119 Depth=2
	v_mov_b32_e32 v17, 0
	s_mov_b64 s[18:19], 0
	v_mov_b32_e32 v18, 0
	s_mov_b64 s[20:21], 0
.LBB0_146:                              ;   Parent Loop BB0_4 Depth=1
                                        ;     Parent Loop BB0_119 Depth=2
                                        ; =>    This Inner Loop Header: Depth=3
	s_add_u32 s24, s0, s20
	s_addc_u32 s25, s1, s21
	global_load_ubyte v1, v2, s[24:25]
	s_add_u32 s20, s20, 1
	s_addc_u32 s21, s21, 0
	s_waitcnt vmcnt(0)
	v_and_b32_e32 v1, 0xffff, v1
	v_lshlrev_b64 v[3:4], s18, v[1:2]
	s_add_u32 s18, s18, 8
	s_addc_u32 s19, s19, 0
	v_or_b32_e32 v17, v3, v17
	s_cmp_lg_u32 s22, s20
	v_or_b32_e32 v18, v4, v18
	s_cbranch_scc1 .LBB0_146
	s_branch .LBB0_149
.LBB0_147:                              ;   in Loop: Header=BB0_119 Depth=2
                                        ; implicit-def: $vgpr17_vgpr18
	s_mov_b32 s23, 0
	s_branch .LBB0_150
.LBB0_148:                              ;   in Loop: Header=BB0_119 Depth=2
	v_mov_b32_e32 v17, 0
	v_mov_b32_e32 v18, 0
.LBB0_149:                              ;   in Loop: Header=BB0_119 Depth=2
	s_mov_b64 s[18:19], s[0:1]
	s_mov_b32 s23, 0
	s_cbranch_execnz .LBB0_151
.LBB0_150:                              ;   in Loop: Header=BB0_119 Depth=2
	global_load_dwordx2 v[17:18], v2, s[0:1]
	s_add_i32 s23, s22, -8
.LBB0_151:                              ;   in Loop: Header=BB0_119 Depth=2
	s_add_u32 s0, s18, 8
	s_addc_u32 s1, s19, 0
	s_cmp_gt_u32 s23, 7
	s_cbranch_scc1 .LBB0_155
; %bb.152:                              ;   in Loop: Header=BB0_119 Depth=2
	s_cmp_eq_u32 s23, 0
	s_cbranch_scc1 .LBB0_156
; %bb.153:                              ;   in Loop: Header=BB0_119 Depth=2
	v_mov_b32_e32 v19, 0
	s_mov_b64 s[0:1], 0
	v_mov_b32_e32 v20, 0
	s_mov_b64 s[20:21], 0
.LBB0_154:                              ;   Parent Loop BB0_4 Depth=1
                                        ;     Parent Loop BB0_119 Depth=2
                                        ; =>    This Inner Loop Header: Depth=3
	s_add_u32 s24, s18, s20
	s_addc_u32 s25, s19, s21
	global_load_ubyte v1, v2, s[24:25]
	s_add_u32 s20, s20, 1
	s_addc_u32 s21, s21, 0
	s_waitcnt vmcnt(0)
	v_and_b32_e32 v1, 0xffff, v1
	v_lshlrev_b64 v[3:4], s0, v[1:2]
	s_add_u32 s0, s0, 8
	s_addc_u32 s1, s1, 0
	v_or_b32_e32 v19, v3, v19
	s_cmp_lg_u32 s23, s20
	v_or_b32_e32 v20, v4, v20
	s_cbranch_scc1 .LBB0_154
	s_branch .LBB0_157
.LBB0_155:                              ;   in Loop: Header=BB0_119 Depth=2
	s_mov_b32 s22, 0
	s_branch .LBB0_158
.LBB0_156:                              ;   in Loop: Header=BB0_119 Depth=2
	v_mov_b32_e32 v19, 0
	v_mov_b32_e32 v20, 0
.LBB0_157:                              ;   in Loop: Header=BB0_119 Depth=2
	s_mov_b64 s[0:1], s[18:19]
	s_mov_b32 s22, 0
	s_cbranch_execnz .LBB0_159
.LBB0_158:                              ;   in Loop: Header=BB0_119 Depth=2
	global_load_dwordx2 v[19:20], v2, s[18:19]
	s_add_i32 s22, s23, -8
.LBB0_159:                              ;   in Loop: Header=BB0_119 Depth=2
	s_add_u32 s18, s0, 8
	s_addc_u32 s19, s1, 0
	s_cmp_gt_u32 s22, 7
	s_cbranch_scc1 .LBB0_163
; %bb.160:                              ;   in Loop: Header=BB0_119 Depth=2
	s_cmp_eq_u32 s22, 0
	s_cbranch_scc1 .LBB0_164
; %bb.161:                              ;   in Loop: Header=BB0_119 Depth=2
	v_mov_b32_e32 v21, 0
	s_mov_b64 s[18:19], 0
	v_mov_b32_e32 v22, 0
	s_mov_b64 s[20:21], 0
.LBB0_162:                              ;   Parent Loop BB0_4 Depth=1
                                        ;     Parent Loop BB0_119 Depth=2
                                        ; =>    This Inner Loop Header: Depth=3
	s_add_u32 s24, s0, s20
	s_addc_u32 s25, s1, s21
	global_load_ubyte v1, v2, s[24:25]
	s_add_u32 s20, s20, 1
	s_addc_u32 s21, s21, 0
	s_waitcnt vmcnt(0)
	v_and_b32_e32 v1, 0xffff, v1
	v_lshlrev_b64 v[3:4], s18, v[1:2]
	s_add_u32 s18, s18, 8
	s_addc_u32 s19, s19, 0
	v_or_b32_e32 v21, v3, v21
	s_cmp_lg_u32 s22, s20
	v_or_b32_e32 v22, v4, v22
	s_cbranch_scc1 .LBB0_162
	s_branch .LBB0_165
.LBB0_163:                              ;   in Loop: Header=BB0_119 Depth=2
                                        ; implicit-def: $vgpr21_vgpr22
	s_mov_b32 s23, 0
	s_branch .LBB0_166
.LBB0_164:                              ;   in Loop: Header=BB0_119 Depth=2
	v_mov_b32_e32 v21, 0
	v_mov_b32_e32 v22, 0
.LBB0_165:                              ;   in Loop: Header=BB0_119 Depth=2
	s_mov_b64 s[18:19], s[0:1]
	s_mov_b32 s23, 0
	s_cbranch_execnz .LBB0_167
.LBB0_166:                              ;   in Loop: Header=BB0_119 Depth=2
	global_load_dwordx2 v[21:22], v2, s[0:1]
	s_add_i32 s23, s22, -8
.LBB0_167:                              ;   in Loop: Header=BB0_119 Depth=2
	s_cmp_gt_u32 s23, 7
	s_cbranch_scc1 .LBB0_171
; %bb.168:                              ;   in Loop: Header=BB0_119 Depth=2
	s_cmp_eq_u32 s23, 0
	s_cbranch_scc1 .LBB0_172
; %bb.169:                              ;   in Loop: Header=BB0_119 Depth=2
	v_mov_b32_e32 v23, 0
	s_mov_b64 s[0:1], 0
	v_mov_b32_e32 v24, 0
	s_mov_b64 s[20:21], s[18:19]
.LBB0_170:                              ;   Parent Loop BB0_4 Depth=1
                                        ;     Parent Loop BB0_119 Depth=2
                                        ; =>    This Inner Loop Header: Depth=3
	global_load_ubyte v1, v2, s[20:21]
	s_add_i32 s23, s23, -1
	s_waitcnt vmcnt(0)
	v_and_b32_e32 v1, 0xffff, v1
	v_lshlrev_b64 v[3:4], s0, v[1:2]
	s_add_u32 s0, s0, 8
	s_addc_u32 s1, s1, 0
	s_add_u32 s20, s20, 1
	s_addc_u32 s21, s21, 0
	v_or_b32_e32 v23, v3, v23
	s_cmp_lg_u32 s23, 0
	v_or_b32_e32 v24, v4, v24
	s_cbranch_scc1 .LBB0_170
	s_branch .LBB0_173
.LBB0_171:                              ;   in Loop: Header=BB0_119 Depth=2
	s_branch .LBB0_174
.LBB0_172:                              ;   in Loop: Header=BB0_119 Depth=2
	v_mov_b32_e32 v23, 0
	v_mov_b32_e32 v24, 0
.LBB0_173:                              ;   in Loop: Header=BB0_119 Depth=2
	s_cbranch_execnz .LBB0_175
.LBB0_174:                              ;   in Loop: Header=BB0_119 Depth=2
	global_load_dwordx2 v[23:24], v2, s[18:19]
.LBB0_175:                              ;   in Loop: Header=BB0_119 Depth=2
	v_readfirstlane_b32 s0, v31
	v_mov_b32_e32 v3, 0
	v_mov_b32_e32 v4, 0
	v_cmp_eq_u32_e64 s[0:1], s0, v31
	s_and_saveexec_b64 s[18:19], s[0:1]
	s_cbranch_execz .LBB0_181
; %bb.176:                              ;   in Loop: Header=BB0_119 Depth=2
	global_load_dwordx2 v[27:28], v2, s[2:3] offset:24 glc
	s_waitcnt vmcnt(0)
	buffer_wbinvl1_vol
	global_load_dwordx2 v[3:4], v2, s[2:3] offset:40
	global_load_dwordx2 v[25:26], v2, s[2:3]
	s_waitcnt vmcnt(1)
	v_and_b32_e32 v1, v3, v27
	v_and_b32_e32 v3, v4, v28
	v_mul_lo_u32 v3, v3, 24
	v_mul_hi_u32 v4, v1, 24
	v_mul_lo_u32 v1, v1, 24
	v_add_u32_e32 v4, v4, v3
	s_waitcnt vmcnt(0)
	v_add_co_u32_e32 v3, vcc, v25, v1
	v_addc_co_u32_e32 v4, vcc, v26, v4, vcc
	global_load_dwordx2 v[25:26], v[3:4], off glc
	s_waitcnt vmcnt(0)
	global_atomic_cmpswap_x2 v[3:4], v2, v[25:28], s[2:3] offset:24 glc
	s_waitcnt vmcnt(0)
	buffer_wbinvl1_vol
	v_cmp_ne_u64_e32 vcc, v[3:4], v[27:28]
	s_and_saveexec_b64 s[20:21], vcc
	s_cbranch_execz .LBB0_180
; %bb.177:                              ;   in Loop: Header=BB0_119 Depth=2
	s_mov_b64 s[22:23], 0
.LBB0_178:                              ;   Parent Loop BB0_4 Depth=1
                                        ;     Parent Loop BB0_119 Depth=2
                                        ; =>    This Inner Loop Header: Depth=3
	s_sleep 1
	global_load_dwordx2 v[25:26], v2, s[2:3] offset:40
	global_load_dwordx2 v[29:30], v2, s[2:3]
	v_mov_b32_e32 v28, v4
	v_mov_b32_e32 v27, v3
	s_waitcnt vmcnt(1)
	v_and_b32_e32 v1, v25, v27
	s_waitcnt vmcnt(0)
	v_mad_u64_u32 v[3:4], s[24:25], v1, 24, v[29:30]
	v_and_b32_e32 v25, v26, v28
	v_mov_b32_e32 v1, v4
	v_mad_u64_u32 v[25:26], s[24:25], v25, 24, v[1:2]
	v_mov_b32_e32 v4, v25
	global_load_dwordx2 v[25:26], v[3:4], off glc
	s_waitcnt vmcnt(0)
	global_atomic_cmpswap_x2 v[3:4], v2, v[25:28], s[2:3] offset:24 glc
	s_waitcnt vmcnt(0)
	buffer_wbinvl1_vol
	v_cmp_eq_u64_e32 vcc, v[3:4], v[27:28]
	s_or_b64 s[22:23], vcc, s[22:23]
	s_andn2_b64 exec, exec, s[22:23]
	s_cbranch_execnz .LBB0_178
; %bb.179:                              ;   in Loop: Header=BB0_119 Depth=2
	s_or_b64 exec, exec, s[22:23]
.LBB0_180:                              ;   in Loop: Header=BB0_119 Depth=2
	s_or_b64 exec, exec, s[20:21]
.LBB0_181:                              ;   in Loop: Header=BB0_119 Depth=2
	s_or_b64 exec, exec, s[18:19]
	global_load_dwordx2 v[29:30], v2, s[2:3] offset:40
	global_load_dwordx4 v[25:28], v2, s[2:3]
	v_readfirstlane_b32 s19, v4
	v_readfirstlane_b32 s18, v3
	s_mov_b64 s[20:21], exec
	s_waitcnt vmcnt(1)
	v_readfirstlane_b32 s22, v29
	v_readfirstlane_b32 s23, v30
	s_and_b64 s[22:23], s[22:23], s[18:19]
	s_mul_i32 s24, s23, 24
	s_mul_hi_u32 s25, s22, 24
	s_mul_i32 s30, s22, 24
	s_add_i32 s24, s25, s24
	v_mov_b32_e32 v1, s24
	s_waitcnt vmcnt(0)
	v_add_co_u32_e32 v29, vcc, s30, v25
	v_addc_co_u32_e32 v30, vcc, v26, v1, vcc
	s_and_saveexec_b64 s[24:25], s[0:1]
	s_cbranch_execz .LBB0_183
; %bb.182:                              ;   in Loop: Header=BB0_119 Depth=2
	v_mov_b32_e32 v3, s20
	v_mov_b32_e32 v4, s21
	global_store_dwordx4 v[29:30], v[3:6], off offset:8
.LBB0_183:                              ;   in Loop: Header=BB0_119 Depth=2
	s_or_b64 exec, exec, s[24:25]
	s_lshl_b64 s[20:21], s[22:23], 12
	v_cmp_gt_u64_e64 s[22:23], s[14:15], 56
	v_mov_b32_e32 v1, s21
	v_add_co_u32_e32 v27, vcc, s20, v27
	s_and_b64 s[20:21], s[22:23], exec
	s_cselect_b32 s20, 0, 2
	s_lshl_b32 s21, s16, 2
	v_addc_co_u32_e32 v28, vcc, v28, v1, vcc
	s_add_i32 s21, s21, 28
	v_and_b32_e32 v1, 0xffffff1f, v9
	s_and_b32 s21, s21, 0x1e0
	v_or_b32_e32 v1, s20, v1
	v_or_b32_e32 v9, s21, v1
	v_readfirstlane_b32 s20, v27
	v_readfirstlane_b32 s21, v28
	s_nop 4
	global_store_dwordx4 v32, v[9:12], s[20:21]
	global_store_dwordx4 v32, v[13:16], s[20:21] offset:16
	global_store_dwordx4 v32, v[17:20], s[20:21] offset:32
	;; [unrolled: 1-line block ×3, first 2 shown]
	s_and_saveexec_b64 s[20:21], s[0:1]
	s_cbranch_execz .LBB0_191
; %bb.184:                              ;   in Loop: Header=BB0_119 Depth=2
	global_load_dwordx2 v[13:14], v2, s[2:3] offset:32 glc
	global_load_dwordx2 v[3:4], v2, s[2:3] offset:40
	v_mov_b32_e32 v11, s18
	v_mov_b32_e32 v12, s19
	s_waitcnt vmcnt(0)
	v_readfirstlane_b32 s22, v3
	v_readfirstlane_b32 s23, v4
	s_and_b64 s[22:23], s[22:23], s[18:19]
	s_mul_i32 s23, s23, 24
	s_mul_hi_u32 s24, s22, 24
	s_mul_i32 s22, s22, 24
	s_add_i32 s23, s24, s23
	v_mov_b32_e32 v1, s23
	v_add_co_u32_e32 v3, vcc, s22, v25
	v_addc_co_u32_e32 v4, vcc, v26, v1, vcc
	global_store_dwordx2 v[3:4], v[13:14], off
	s_waitcnt vmcnt(0)
	global_atomic_cmpswap_x2 v[11:12], v2, v[11:14], s[2:3] offset:32 glc
	s_waitcnt vmcnt(0)
	v_cmp_ne_u64_e32 vcc, v[11:12], v[13:14]
	s_and_saveexec_b64 s[22:23], vcc
	s_cbranch_execz .LBB0_187
; %bb.185:                              ;   in Loop: Header=BB0_119 Depth=2
	s_mov_b64 s[24:25], 0
.LBB0_186:                              ;   Parent Loop BB0_4 Depth=1
                                        ;     Parent Loop BB0_119 Depth=2
                                        ; =>    This Inner Loop Header: Depth=3
	s_sleep 1
	global_store_dwordx2 v[3:4], v[11:12], off
	v_mov_b32_e32 v9, s18
	v_mov_b32_e32 v10, s19
	s_waitcnt vmcnt(0)
	global_atomic_cmpswap_x2 v[9:10], v2, v[9:12], s[2:3] offset:32 glc
	s_waitcnt vmcnt(0)
	v_cmp_eq_u64_e32 vcc, v[9:10], v[11:12]
	v_mov_b32_e32 v12, v10
	s_or_b64 s[24:25], vcc, s[24:25]
	v_mov_b32_e32 v11, v9
	s_andn2_b64 exec, exec, s[24:25]
	s_cbranch_execnz .LBB0_186
.LBB0_187:                              ;   in Loop: Header=BB0_119 Depth=2
	s_or_b64 exec, exec, s[22:23]
	global_load_dwordx2 v[3:4], v2, s[2:3] offset:16
	s_mov_b64 s[24:25], exec
	v_mbcnt_lo_u32_b32 v1, s24, 0
	v_mbcnt_hi_u32_b32 v1, s25, v1
	v_cmp_eq_u32_e32 vcc, 0, v1
	s_and_saveexec_b64 s[22:23], vcc
	s_cbranch_execz .LBB0_189
; %bb.188:                              ;   in Loop: Header=BB0_119 Depth=2
	s_bcnt1_i32_b64 s24, s[24:25]
	v_mov_b32_e32 v1, s24
	s_waitcnt vmcnt(0)
	global_atomic_add_x2 v[3:4], v[1:2], off offset:8
.LBB0_189:                              ;   in Loop: Header=BB0_119 Depth=2
	s_or_b64 exec, exec, s[22:23]
	s_waitcnt vmcnt(0)
	global_load_dwordx2 v[9:10], v[3:4], off offset:16
	s_waitcnt vmcnt(0)
	v_cmp_eq_u64_e32 vcc, 0, v[9:10]
	s_cbranch_vccnz .LBB0_191
; %bb.190:                              ;   in Loop: Header=BB0_119 Depth=2
	global_load_dword v1, v[3:4], off offset:24
	s_waitcnt vmcnt(0)
	v_readfirstlane_b32 s22, v1
	s_and_b32 m0, s22, 0xffffff
	global_store_dwordx2 v[9:10], v[1:2], off
	s_sendmsg sendmsg(MSG_INTERRUPT)
.LBB0_191:                              ;   in Loop: Header=BB0_119 Depth=2
	s_or_b64 exec, exec, s[20:21]
	v_add_co_u32_e32 v3, vcc, v27, v32
	v_addc_co_u32_e32 v4, vcc, 0, v28, vcc
	s_branch .LBB0_195
.LBB0_192:                              ;   in Loop: Header=BB0_195 Depth=3
	s_or_b64 exec, exec, s[20:21]
	v_readfirstlane_b32 s20, v1
	s_cmp_eq_u32 s20, 0
	s_cbranch_scc1 .LBB0_194
; %bb.193:                              ;   in Loop: Header=BB0_195 Depth=3
	s_sleep 1
	s_cbranch_execnz .LBB0_195
	s_branch .LBB0_197
.LBB0_194:                              ;   in Loop: Header=BB0_119 Depth=2
	s_branch .LBB0_197
.LBB0_195:                              ;   Parent Loop BB0_4 Depth=1
                                        ;     Parent Loop BB0_119 Depth=2
                                        ; =>    This Inner Loop Header: Depth=3
	v_mov_b32_e32 v1, 1
	s_and_saveexec_b64 s[20:21], s[0:1]
	s_cbranch_execz .LBB0_192
; %bb.196:                              ;   in Loop: Header=BB0_195 Depth=3
	global_load_dword v1, v[29:30], off offset:20 glc
	s_waitcnt vmcnt(0)
	buffer_wbinvl1_vol
	v_and_b32_e32 v1, 1, v1
	s_branch .LBB0_192
.LBB0_197:                              ;   in Loop: Header=BB0_119 Depth=2
	global_load_dwordx4 v[9:12], v[3:4], off
	s_and_saveexec_b64 s[20:21], s[0:1]
	s_cbranch_execz .LBB0_118
; %bb.198:                              ;   in Loop: Header=BB0_119 Depth=2
	global_load_dwordx2 v[3:4], v2, s[2:3] offset:40
	global_load_dwordx2 v[15:16], v2, s[2:3] offset:24 glc
	global_load_dwordx2 v[11:12], v2, s[2:3]
	s_waitcnt vmcnt(2)
	v_readfirstlane_b32 s22, v3
	v_readfirstlane_b32 s23, v4
	s_add_u32 s24, s22, 1
	s_addc_u32 s25, s23, 0
	s_add_u32 s0, s24, s18
	s_addc_u32 s1, s25, s19
	s_cmp_eq_u64 s[0:1], 0
	s_cselect_b32 s1, s25, s1
	s_cselect_b32 s0, s24, s0
	s_and_b64 s[18:19], s[0:1], s[22:23]
	s_mul_i32 s19, s19, 24
	s_mul_hi_u32 s22, s18, 24
	s_mul_i32 s18, s18, 24
	s_add_i32 s19, s22, s19
	v_mov_b32_e32 v1, s19
	s_waitcnt vmcnt(0)
	v_add_co_u32_e32 v3, vcc, s18, v11
	v_addc_co_u32_e32 v4, vcc, v12, v1, vcc
	v_mov_b32_e32 v13, s0
	global_store_dwordx2 v[3:4], v[15:16], off
	v_mov_b32_e32 v14, s1
	s_waitcnt vmcnt(0)
	global_atomic_cmpswap_x2 v[13:14], v2, v[13:16], s[2:3] offset:24 glc
	s_waitcnt vmcnt(0)
	v_cmp_ne_u64_e32 vcc, v[13:14], v[15:16]
	s_and_b64 exec, exec, vcc
	s_cbranch_execz .LBB0_118
; %bb.199:                              ;   in Loop: Header=BB0_119 Depth=2
	s_mov_b64 s[18:19], 0
.LBB0_200:                              ;   Parent Loop BB0_4 Depth=1
                                        ;     Parent Loop BB0_119 Depth=2
                                        ; =>    This Inner Loop Header: Depth=3
	s_sleep 1
	global_store_dwordx2 v[3:4], v[13:14], off
	v_mov_b32_e32 v11, s0
	v_mov_b32_e32 v12, s1
	s_waitcnt vmcnt(0)
	global_atomic_cmpswap_x2 v[11:12], v2, v[11:14], s[2:3] offset:24 glc
	s_waitcnt vmcnt(0)
	v_cmp_eq_u64_e32 vcc, v[11:12], v[13:14]
	v_mov_b32_e32 v14, v12
	s_or_b64 s[18:19], vcc, s[18:19]
	v_mov_b32_e32 v13, v11
	s_andn2_b64 exec, exec, s[18:19]
	s_cbranch_execnz .LBB0_200
	s_branch .LBB0_118
.LBB0_201:                              ;   in Loop: Header=BB0_4 Depth=1
	s_branch .LBB0_3
.LBB0_202:                              ;   in Loop: Header=BB0_4 Depth=1
                                        ; implicit-def: $vgpr7_vgpr8
	s_cbranch_execz .LBB0_116
; %bb.203:                              ;   in Loop: Header=BB0_4 Depth=1
	v_readfirstlane_b32 s0, v31
	v_mov_b32_e32 v3, 0
	v_mov_b32_e32 v4, 0
	v_cmp_eq_u32_e64 s[0:1], s0, v31
	s_and_saveexec_b64 s[12:13], s[0:1]
	s_cbranch_execz .LBB0_209
; %bb.204:                              ;   in Loop: Header=BB0_4 Depth=1
	global_load_dwordx2 v[9:10], v2, s[2:3] offset:24 glc
	s_waitcnt vmcnt(0)
	buffer_wbinvl1_vol
	global_load_dwordx2 v[3:4], v2, s[2:3] offset:40
	global_load_dwordx2 v[7:8], v2, s[2:3]
	s_waitcnt vmcnt(1)
	v_and_b32_e32 v1, v3, v9
	v_and_b32_e32 v3, v4, v10
	v_mul_lo_u32 v3, v3, 24
	v_mul_hi_u32 v4, v1, 24
	v_mul_lo_u32 v1, v1, 24
	v_add_u32_e32 v4, v4, v3
	s_waitcnt vmcnt(0)
	v_add_co_u32_e32 v3, vcc, v7, v1
	v_addc_co_u32_e32 v4, vcc, v8, v4, vcc
	global_load_dwordx2 v[7:8], v[3:4], off glc
	s_waitcnt vmcnt(0)
	global_atomic_cmpswap_x2 v[3:4], v2, v[7:10], s[2:3] offset:24 glc
	s_waitcnt vmcnt(0)
	buffer_wbinvl1_vol
	v_cmp_ne_u64_e32 vcc, v[3:4], v[9:10]
	s_and_saveexec_b64 s[14:15], vcc
	s_cbranch_execz .LBB0_208
; %bb.205:                              ;   in Loop: Header=BB0_4 Depth=1
	s_mov_b64 s[16:17], 0
.LBB0_206:                              ;   Parent Loop BB0_4 Depth=1
                                        ; =>  This Inner Loop Header: Depth=2
	s_sleep 1
	global_load_dwordx2 v[7:8], v2, s[2:3] offset:40
	global_load_dwordx2 v[13:14], v2, s[2:3]
	v_mov_b32_e32 v10, v4
	v_mov_b32_e32 v9, v3
	s_waitcnt vmcnt(1)
	v_and_b32_e32 v1, v7, v9
	s_waitcnt vmcnt(0)
	v_mad_u64_u32 v[3:4], s[18:19], v1, 24, v[13:14]
	v_and_b32_e32 v7, v8, v10
	v_mov_b32_e32 v1, v4
	v_mad_u64_u32 v[7:8], s[18:19], v7, 24, v[1:2]
	v_mov_b32_e32 v4, v7
	global_load_dwordx2 v[7:8], v[3:4], off glc
	s_waitcnt vmcnt(0)
	global_atomic_cmpswap_x2 v[3:4], v2, v[7:10], s[2:3] offset:24 glc
	s_waitcnt vmcnt(0)
	buffer_wbinvl1_vol
	v_cmp_eq_u64_e32 vcc, v[3:4], v[9:10]
	s_or_b64 s[16:17], vcc, s[16:17]
	s_andn2_b64 exec, exec, s[16:17]
	s_cbranch_execnz .LBB0_206
; %bb.207:                              ;   in Loop: Header=BB0_4 Depth=1
	s_or_b64 exec, exec, s[16:17]
.LBB0_208:                              ;   in Loop: Header=BB0_4 Depth=1
	s_or_b64 exec, exec, s[14:15]
.LBB0_209:                              ;   in Loop: Header=BB0_4 Depth=1
	s_or_b64 exec, exec, s[12:13]
	global_load_dwordx2 v[13:14], v2, s[2:3] offset:40
	global_load_dwordx4 v[7:10], v2, s[2:3]
	v_readfirstlane_b32 s13, v4
	v_readfirstlane_b32 s12, v3
	s_mov_b64 s[14:15], exec
	s_waitcnt vmcnt(1)
	v_readfirstlane_b32 s16, v13
	v_readfirstlane_b32 s17, v14
	s_and_b64 s[16:17], s[16:17], s[12:13]
	s_mul_i32 s18, s17, 24
	s_mul_hi_u32 s19, s16, 24
	s_mul_i32 s20, s16, 24
	s_add_i32 s18, s19, s18
	v_mov_b32_e32 v1, s18
	s_waitcnt vmcnt(0)
	v_add_co_u32_e32 v15, vcc, s20, v7
	v_addc_co_u32_e32 v16, vcc, v8, v1, vcc
	s_and_saveexec_b64 s[18:19], s[0:1]
	s_cbranch_execz .LBB0_211
; %bb.210:                              ;   in Loop: Header=BB0_4 Depth=1
	v_mov_b32_e32 v3, s14
	v_mov_b32_e32 v4, s15
	global_store_dwordx4 v[15:16], v[3:6], off offset:8
.LBB0_211:                              ;   in Loop: Header=BB0_4 Depth=1
	s_or_b64 exec, exec, s[18:19]
	s_lshl_b64 s[14:15], s[16:17], 12
	v_mov_b32_e32 v1, s15
	v_add_co_u32_e32 v17, vcc, s14, v9
	v_addc_co_u32_e32 v18, vcc, v10, v1, vcc
	v_and_or_b32 v11, v11, s27, 32
	v_mov_b32_e32 v13, v2
	v_mov_b32_e32 v14, v2
	v_readfirstlane_b32 s14, v17
	v_readfirstlane_b32 s15, v18
	s_nop 4
	global_store_dwordx4 v32, v[11:14], s[14:15]
	s_nop 0
	v_mov_b32_e32 v12, s11
	v_mov_b32_e32 v11, s10
	;; [unrolled: 1-line block ×4, first 2 shown]
	global_store_dwordx4 v32, v[9:12], s[14:15] offset:16
	global_store_dwordx4 v32, v[9:12], s[14:15] offset:32
	;; [unrolled: 1-line block ×3, first 2 shown]
	s_and_saveexec_b64 s[14:15], s[0:1]
	s_cbranch_execz .LBB0_219
; %bb.212:                              ;   in Loop: Header=BB0_4 Depth=1
	global_load_dwordx2 v[11:12], v2, s[2:3] offset:32 glc
	global_load_dwordx2 v[3:4], v2, s[2:3] offset:40
	v_mov_b32_e32 v9, s12
	v_mov_b32_e32 v10, s13
	s_waitcnt vmcnt(0)
	v_readfirstlane_b32 s16, v3
	v_readfirstlane_b32 s17, v4
	s_and_b64 s[16:17], s[16:17], s[12:13]
	s_mul_i32 s17, s17, 24
	s_mul_hi_u32 s18, s16, 24
	s_mul_i32 s16, s16, 24
	s_add_i32 s17, s18, s17
	v_mov_b32_e32 v1, s17
	v_add_co_u32_e32 v3, vcc, s16, v7
	v_addc_co_u32_e32 v4, vcc, v8, v1, vcc
	global_store_dwordx2 v[3:4], v[11:12], off
	s_waitcnt vmcnt(0)
	global_atomic_cmpswap_x2 v[9:10], v2, v[9:12], s[2:3] offset:32 glc
	s_waitcnt vmcnt(0)
	v_cmp_ne_u64_e32 vcc, v[9:10], v[11:12]
	s_and_saveexec_b64 s[16:17], vcc
	s_cbranch_execz .LBB0_215
; %bb.213:                              ;   in Loop: Header=BB0_4 Depth=1
	s_mov_b64 s[18:19], 0
.LBB0_214:                              ;   Parent Loop BB0_4 Depth=1
                                        ; =>  This Inner Loop Header: Depth=2
	s_sleep 1
	global_store_dwordx2 v[3:4], v[9:10], off
	v_mov_b32_e32 v7, s12
	v_mov_b32_e32 v8, s13
	s_waitcnt vmcnt(0)
	global_atomic_cmpswap_x2 v[7:8], v2, v[7:10], s[2:3] offset:32 glc
	s_waitcnt vmcnt(0)
	v_cmp_eq_u64_e32 vcc, v[7:8], v[9:10]
	v_mov_b32_e32 v10, v8
	s_or_b64 s[18:19], vcc, s[18:19]
	v_mov_b32_e32 v9, v7
	s_andn2_b64 exec, exec, s[18:19]
	s_cbranch_execnz .LBB0_214
.LBB0_215:                              ;   in Loop: Header=BB0_4 Depth=1
	s_or_b64 exec, exec, s[16:17]
	global_load_dwordx2 v[3:4], v2, s[2:3] offset:16
	s_mov_b64 s[18:19], exec
	v_mbcnt_lo_u32_b32 v1, s18, 0
	v_mbcnt_hi_u32_b32 v1, s19, v1
	v_cmp_eq_u32_e32 vcc, 0, v1
	s_and_saveexec_b64 s[16:17], vcc
	s_cbranch_execz .LBB0_217
; %bb.216:                              ;   in Loop: Header=BB0_4 Depth=1
	s_bcnt1_i32_b64 s18, s[18:19]
	v_mov_b32_e32 v1, s18
	s_waitcnt vmcnt(0)
	global_atomic_add_x2 v[3:4], v[1:2], off offset:8
.LBB0_217:                              ;   in Loop: Header=BB0_4 Depth=1
	s_or_b64 exec, exec, s[16:17]
	s_waitcnt vmcnt(0)
	global_load_dwordx2 v[7:8], v[3:4], off offset:16
	s_waitcnt vmcnt(0)
	v_cmp_eq_u64_e32 vcc, 0, v[7:8]
	s_cbranch_vccnz .LBB0_219
; %bb.218:                              ;   in Loop: Header=BB0_4 Depth=1
	global_load_dword v1, v[3:4], off offset:24
	s_waitcnt vmcnt(0)
	v_readfirstlane_b32 s16, v1
	s_and_b32 m0, s16, 0xffffff
	global_store_dwordx2 v[7:8], v[1:2], off
	s_sendmsg sendmsg(MSG_INTERRUPT)
.LBB0_219:                              ;   in Loop: Header=BB0_4 Depth=1
	s_or_b64 exec, exec, s[14:15]
	v_add_co_u32_e32 v3, vcc, v17, v32
	v_addc_co_u32_e32 v4, vcc, 0, v18, vcc
	s_branch .LBB0_223
.LBB0_220:                              ;   in Loop: Header=BB0_223 Depth=2
	s_or_b64 exec, exec, s[14:15]
	v_readfirstlane_b32 s14, v1
	s_cmp_eq_u32 s14, 0
	s_cbranch_scc1 .LBB0_222
; %bb.221:                              ;   in Loop: Header=BB0_223 Depth=2
	s_sleep 1
	s_cbranch_execnz .LBB0_223
	s_branch .LBB0_225
.LBB0_222:                              ;   in Loop: Header=BB0_4 Depth=1
	s_branch .LBB0_225
.LBB0_223:                              ;   Parent Loop BB0_4 Depth=1
                                        ; =>  This Inner Loop Header: Depth=2
	v_mov_b32_e32 v1, 1
	s_and_saveexec_b64 s[14:15], s[0:1]
	s_cbranch_execz .LBB0_220
; %bb.224:                              ;   in Loop: Header=BB0_223 Depth=2
	global_load_dword v1, v[15:16], off offset:20 glc
	s_waitcnt vmcnt(0)
	buffer_wbinvl1_vol
	v_and_b32_e32 v1, 1, v1
	s_branch .LBB0_220
.LBB0_225:                              ;   in Loop: Header=BB0_4 Depth=1
	global_load_dwordx2 v[7:8], v[3:4], off
	s_and_saveexec_b64 s[14:15], s[0:1]
	s_cbranch_execz .LBB0_229
; %bb.226:                              ;   in Loop: Header=BB0_4 Depth=1
	global_load_dwordx2 v[3:4], v2, s[2:3] offset:40
	global_load_dwordx2 v[13:14], v2, s[2:3] offset:24 glc
	global_load_dwordx2 v[9:10], v2, s[2:3]
	s_waitcnt vmcnt(2)
	v_readfirstlane_b32 s16, v3
	v_readfirstlane_b32 s17, v4
	s_add_u32 s18, s16, 1
	s_addc_u32 s19, s17, 0
	s_add_u32 s0, s18, s12
	s_addc_u32 s1, s19, s13
	s_cmp_eq_u64 s[0:1], 0
	s_cselect_b32 s1, s19, s1
	s_cselect_b32 s0, s18, s0
	s_and_b64 s[12:13], s[0:1], s[16:17]
	s_mul_i32 s13, s13, 24
	s_mul_hi_u32 s16, s12, 24
	s_mul_i32 s12, s12, 24
	s_add_i32 s13, s16, s13
	v_mov_b32_e32 v1, s13
	s_waitcnt vmcnt(0)
	v_add_co_u32_e32 v3, vcc, s12, v9
	v_addc_co_u32_e32 v4, vcc, v10, v1, vcc
	v_mov_b32_e32 v11, s0
	global_store_dwordx2 v[3:4], v[13:14], off
	v_mov_b32_e32 v12, s1
	s_waitcnt vmcnt(0)
	global_atomic_cmpswap_x2 v[11:12], v2, v[11:14], s[2:3] offset:24 glc
	s_waitcnt vmcnt(0)
	v_cmp_ne_u64_e32 vcc, v[11:12], v[13:14]
	s_and_b64 exec, exec, vcc
	s_cbranch_execz .LBB0_229
; %bb.227:                              ;   in Loop: Header=BB0_4 Depth=1
	s_mov_b64 s[12:13], 0
.LBB0_228:                              ;   Parent Loop BB0_4 Depth=1
                                        ; =>  This Inner Loop Header: Depth=2
	s_sleep 1
	global_store_dwordx2 v[3:4], v[11:12], off
	v_mov_b32_e32 v9, s0
	v_mov_b32_e32 v10, s1
	s_waitcnt vmcnt(0)
	global_atomic_cmpswap_x2 v[9:10], v2, v[9:12], s[2:3] offset:24 glc
	s_waitcnt vmcnt(0)
	v_cmp_eq_u64_e32 vcc, v[9:10], v[11:12]
	v_mov_b32_e32 v12, v10
	s_or_b64 s[12:13], vcc, s[12:13]
	v_mov_b32_e32 v11, v9
	s_andn2_b64 exec, exec, s[12:13]
	s_cbranch_execnz .LBB0_228
.LBB0_229:                              ;   in Loop: Header=BB0_4 Depth=1
	s_or_b64 exec, exec, s[14:15]
	s_and_b64 vcc, exec, s[6:7]
	s_cbranch_vccnz .LBB0_117
.LBB0_230:                              ;   in Loop: Header=BB0_4 Depth=1
	s_cbranch_execz .LBB0_3
; %bb.231:                              ;   in Loop: Header=BB0_4 Depth=1
	v_readfirstlane_b32 s0, v31
	v_mov_b32_e32 v3, 0
	v_mov_b32_e32 v4, 0
	v_cmp_eq_u32_e64 s[0:1], s0, v31
	s_and_saveexec_b64 s[12:13], s[0:1]
	s_cbranch_execz .LBB0_237
; %bb.232:                              ;   in Loop: Header=BB0_4 Depth=1
	global_load_dwordx2 v[11:12], v2, s[2:3] offset:24 glc
	s_waitcnt vmcnt(0)
	buffer_wbinvl1_vol
	global_load_dwordx2 v[3:4], v2, s[2:3] offset:40
	global_load_dwordx2 v[9:10], v2, s[2:3]
	s_waitcnt vmcnt(1)
	v_and_b32_e32 v1, v3, v11
	v_and_b32_e32 v3, v4, v12
	v_mul_lo_u32 v3, v3, 24
	v_mul_hi_u32 v4, v1, 24
	v_mul_lo_u32 v1, v1, 24
	v_add_u32_e32 v4, v4, v3
	s_waitcnt vmcnt(0)
	v_add_co_u32_e32 v3, vcc, v9, v1
	v_addc_co_u32_e32 v4, vcc, v10, v4, vcc
	global_load_dwordx2 v[9:10], v[3:4], off glc
	s_waitcnt vmcnt(0)
	global_atomic_cmpswap_x2 v[3:4], v2, v[9:12], s[2:3] offset:24 glc
	s_waitcnt vmcnt(0)
	buffer_wbinvl1_vol
	v_cmp_ne_u64_e32 vcc, v[3:4], v[11:12]
	s_and_saveexec_b64 s[14:15], vcc
	s_cbranch_execz .LBB0_236
; %bb.233:                              ;   in Loop: Header=BB0_4 Depth=1
	s_mov_b64 s[16:17], 0
.LBB0_234:                              ;   Parent Loop BB0_4 Depth=1
                                        ; =>  This Inner Loop Header: Depth=2
	s_sleep 1
	global_load_dwordx2 v[9:10], v2, s[2:3] offset:40
	global_load_dwordx2 v[13:14], v2, s[2:3]
	v_mov_b32_e32 v12, v4
	v_mov_b32_e32 v11, v3
	s_waitcnt vmcnt(1)
	v_and_b32_e32 v1, v9, v11
	s_waitcnt vmcnt(0)
	v_mad_u64_u32 v[3:4], s[18:19], v1, 24, v[13:14]
	v_and_b32_e32 v9, v10, v12
	v_mov_b32_e32 v1, v4
	v_mad_u64_u32 v[9:10], s[18:19], v9, 24, v[1:2]
	v_mov_b32_e32 v4, v9
	global_load_dwordx2 v[9:10], v[3:4], off glc
	s_waitcnt vmcnt(0)
	global_atomic_cmpswap_x2 v[3:4], v2, v[9:12], s[2:3] offset:24 glc
	s_waitcnt vmcnt(0)
	buffer_wbinvl1_vol
	v_cmp_eq_u64_e32 vcc, v[3:4], v[11:12]
	s_or_b64 s[16:17], vcc, s[16:17]
	s_andn2_b64 exec, exec, s[16:17]
	s_cbranch_execnz .LBB0_234
; %bb.235:                              ;   in Loop: Header=BB0_4 Depth=1
	s_or_b64 exec, exec, s[16:17]
.LBB0_236:                              ;   in Loop: Header=BB0_4 Depth=1
	s_or_b64 exec, exec, s[14:15]
.LBB0_237:                              ;   in Loop: Header=BB0_4 Depth=1
	s_or_b64 exec, exec, s[12:13]
	global_load_dwordx2 v[9:10], v2, s[2:3] offset:40
	global_load_dwordx4 v[11:14], v2, s[2:3]
	v_readfirstlane_b32 s13, v4
	v_readfirstlane_b32 s12, v3
	s_mov_b64 s[14:15], exec
	s_waitcnt vmcnt(1)
	v_readfirstlane_b32 s16, v9
	v_readfirstlane_b32 s17, v10
	s_and_b64 s[16:17], s[16:17], s[12:13]
	s_mul_i32 s18, s17, 24
	s_mul_hi_u32 s19, s16, 24
	s_mul_i32 s20, s16, 24
	s_add_i32 s18, s19, s18
	v_mov_b32_e32 v1, s18
	s_waitcnt vmcnt(0)
	v_add_co_u32_e32 v15, vcc, s20, v11
	v_addc_co_u32_e32 v16, vcc, v12, v1, vcc
	s_and_saveexec_b64 s[18:19], s[0:1]
	s_cbranch_execz .LBB0_239
; %bb.238:                              ;   in Loop: Header=BB0_4 Depth=1
	v_mov_b32_e32 v3, s14
	v_mov_b32_e32 v4, s15
	global_store_dwordx4 v[15:16], v[3:6], off offset:8
.LBB0_239:                              ;   in Loop: Header=BB0_4 Depth=1
	s_or_b64 exec, exec, s[18:19]
	s_lshl_b64 s[14:15], s[16:17], 12
	v_mov_b32_e32 v1, s15
	v_add_co_u32_e32 v3, vcc, s14, v13
	v_addc_co_u32_e32 v1, vcc, v14, v1, vcc
	v_and_or_b32 v7, v7, s28, 34
	v_mov_b32_e32 v9, v2
	v_mov_b32_e32 v10, v2
	v_readfirstlane_b32 s14, v3
	v_readfirstlane_b32 s15, v1
	s_nop 4
	global_store_dwordx4 v32, v[7:10], s[14:15]
	s_nop 0
	v_mov_b32_e32 v7, s8
	v_mov_b32_e32 v8, s9
	;; [unrolled: 1-line block ×4, first 2 shown]
	global_store_dwordx4 v32, v[7:10], s[14:15] offset:16
	global_store_dwordx4 v32, v[7:10], s[14:15] offset:32
	;; [unrolled: 1-line block ×3, first 2 shown]
	s_and_saveexec_b64 s[14:15], s[0:1]
	s_cbranch_execz .LBB0_247
; %bb.240:                              ;   in Loop: Header=BB0_4 Depth=1
	global_load_dwordx2 v[19:20], v2, s[2:3] offset:32 glc
	global_load_dwordx2 v[3:4], v2, s[2:3] offset:40
	v_mov_b32_e32 v17, s12
	v_mov_b32_e32 v18, s13
	s_waitcnt vmcnt(0)
	v_readfirstlane_b32 s16, v3
	v_readfirstlane_b32 s17, v4
	s_and_b64 s[16:17], s[16:17], s[12:13]
	s_mul_i32 s17, s17, 24
	s_mul_hi_u32 s18, s16, 24
	s_mul_i32 s16, s16, 24
	s_add_i32 s17, s18, s17
	v_mov_b32_e32 v1, s17
	v_add_co_u32_e32 v3, vcc, s16, v11
	v_addc_co_u32_e32 v4, vcc, v12, v1, vcc
	global_store_dwordx2 v[3:4], v[19:20], off
	s_waitcnt vmcnt(0)
	global_atomic_cmpswap_x2 v[9:10], v2, v[17:20], s[2:3] offset:32 glc
	s_waitcnt vmcnt(0)
	v_cmp_ne_u64_e32 vcc, v[9:10], v[19:20]
	s_and_saveexec_b64 s[16:17], vcc
	s_cbranch_execz .LBB0_243
; %bb.241:                              ;   in Loop: Header=BB0_4 Depth=1
	s_mov_b64 s[18:19], 0
.LBB0_242:                              ;   Parent Loop BB0_4 Depth=1
                                        ; =>  This Inner Loop Header: Depth=2
	s_sleep 1
	global_store_dwordx2 v[3:4], v[9:10], off
	v_mov_b32_e32 v7, s12
	v_mov_b32_e32 v8, s13
	s_waitcnt vmcnt(0)
	global_atomic_cmpswap_x2 v[7:8], v2, v[7:10], s[2:3] offset:32 glc
	s_waitcnt vmcnt(0)
	v_cmp_eq_u64_e32 vcc, v[7:8], v[9:10]
	v_mov_b32_e32 v10, v8
	s_or_b64 s[18:19], vcc, s[18:19]
	v_mov_b32_e32 v9, v7
	s_andn2_b64 exec, exec, s[18:19]
	s_cbranch_execnz .LBB0_242
.LBB0_243:                              ;   in Loop: Header=BB0_4 Depth=1
	s_or_b64 exec, exec, s[16:17]
	global_load_dwordx2 v[3:4], v2, s[2:3] offset:16
	s_mov_b64 s[18:19], exec
	v_mbcnt_lo_u32_b32 v1, s18, 0
	v_mbcnt_hi_u32_b32 v1, s19, v1
	v_cmp_eq_u32_e32 vcc, 0, v1
	s_and_saveexec_b64 s[16:17], vcc
	s_cbranch_execz .LBB0_245
; %bb.244:                              ;   in Loop: Header=BB0_4 Depth=1
	s_bcnt1_i32_b64 s18, s[18:19]
	v_mov_b32_e32 v1, s18
	s_waitcnt vmcnt(0)
	global_atomic_add_x2 v[3:4], v[1:2], off offset:8
.LBB0_245:                              ;   in Loop: Header=BB0_4 Depth=1
	s_or_b64 exec, exec, s[16:17]
	s_waitcnt vmcnt(0)
	global_load_dwordx2 v[7:8], v[3:4], off offset:16
	s_waitcnt vmcnt(0)
	v_cmp_eq_u64_e32 vcc, 0, v[7:8]
	s_cbranch_vccnz .LBB0_247
; %bb.246:                              ;   in Loop: Header=BB0_4 Depth=1
	global_load_dword v1, v[3:4], off offset:24
	s_waitcnt vmcnt(0)
	v_readfirstlane_b32 s16, v1
	s_and_b32 m0, s16, 0xffffff
	global_store_dwordx2 v[7:8], v[1:2], off
	s_sendmsg sendmsg(MSG_INTERRUPT)
.LBB0_247:                              ;   in Loop: Header=BB0_4 Depth=1
	s_or_b64 exec, exec, s[14:15]
	s_branch .LBB0_251
.LBB0_248:                              ;   in Loop: Header=BB0_251 Depth=2
	s_or_b64 exec, exec, s[14:15]
	v_readfirstlane_b32 s14, v1
	s_cmp_eq_u32 s14, 0
	s_cbranch_scc1 .LBB0_250
; %bb.249:                              ;   in Loop: Header=BB0_251 Depth=2
	s_sleep 1
	s_cbranch_execnz .LBB0_251
	s_branch .LBB0_253
.LBB0_250:                              ;   in Loop: Header=BB0_4 Depth=1
	s_branch .LBB0_253
.LBB0_251:                              ;   Parent Loop BB0_4 Depth=1
                                        ; =>  This Inner Loop Header: Depth=2
	v_mov_b32_e32 v1, 1
	s_and_saveexec_b64 s[14:15], s[0:1]
	s_cbranch_execz .LBB0_248
; %bb.252:                              ;   in Loop: Header=BB0_251 Depth=2
	global_load_dword v1, v[15:16], off offset:20 glc
	s_waitcnt vmcnt(0)
	buffer_wbinvl1_vol
	v_and_b32_e32 v1, 1, v1
	s_branch .LBB0_248
.LBB0_253:                              ;   in Loop: Header=BB0_4 Depth=1
	s_and_saveexec_b64 s[14:15], s[0:1]
	s_cbranch_execz .LBB0_2
; %bb.254:                              ;   in Loop: Header=BB0_4 Depth=1
	global_load_dwordx2 v[3:4], v2, s[2:3] offset:40
	global_load_dwordx2 v[11:12], v2, s[2:3] offset:24 glc
	global_load_dwordx2 v[7:8], v2, s[2:3]
	s_waitcnt vmcnt(2)
	v_readfirstlane_b32 s16, v3
	v_readfirstlane_b32 s17, v4
	s_add_u32 s18, s16, 1
	s_addc_u32 s19, s17, 0
	s_add_u32 s0, s18, s12
	s_addc_u32 s1, s19, s13
	s_cmp_eq_u64 s[0:1], 0
	s_cselect_b32 s1, s19, s1
	s_cselect_b32 s0, s18, s0
	s_and_b64 s[12:13], s[0:1], s[16:17]
	s_mul_i32 s13, s13, 24
	s_mul_hi_u32 s16, s12, 24
	s_mul_i32 s12, s12, 24
	s_add_i32 s13, s16, s13
	v_mov_b32_e32 v1, s13
	s_waitcnt vmcnt(0)
	v_add_co_u32_e32 v3, vcc, s12, v7
	v_addc_co_u32_e32 v4, vcc, v8, v1, vcc
	v_mov_b32_e32 v9, s0
	global_store_dwordx2 v[3:4], v[11:12], off
	v_mov_b32_e32 v10, s1
	s_waitcnt vmcnt(0)
	global_atomic_cmpswap_x2 v[9:10], v2, v[9:12], s[2:3] offset:24 glc
	s_waitcnt vmcnt(0)
	v_cmp_ne_u64_e32 vcc, v[9:10], v[11:12]
	s_and_b64 exec, exec, vcc
	s_cbranch_execz .LBB0_2
; %bb.255:                              ;   in Loop: Header=BB0_4 Depth=1
	s_mov_b64 s[12:13], 0
.LBB0_256:                              ;   Parent Loop BB0_4 Depth=1
                                        ; =>  This Inner Loop Header: Depth=2
	s_sleep 1
	global_store_dwordx2 v[3:4], v[9:10], off
	v_mov_b32_e32 v7, s0
	v_mov_b32_e32 v8, s1
	s_waitcnt vmcnt(0)
	global_atomic_cmpswap_x2 v[7:8], v2, v[7:10], s[2:3] offset:24 glc
	s_waitcnt vmcnt(0)
	v_cmp_eq_u64_e32 vcc, v[7:8], v[9:10]
	v_mov_b32_e32 v10, v8
	s_or_b64 s[12:13], vcc, s[12:13]
	v_mov_b32_e32 v9, v7
	s_andn2_b64 exec, exec, s[12:13]
	s_cbranch_execnz .LBB0_256
	s_branch .LBB0_2
.LBB0_257:
	s_endpgm
	.section	.rodata,"a",@progbits
	.p2align	6, 0x0
	.amdhsa_kernel _ZN19hipPrintfStressTest22kernel_printf_conststrEj
		.amdhsa_group_segment_fixed_size 0
		.amdhsa_private_segment_fixed_size 0
		.amdhsa_kernarg_size 264
		.amdhsa_user_sgpr_count 6
		.amdhsa_user_sgpr_private_segment_buffer 1
		.amdhsa_user_sgpr_dispatch_ptr 0
		.amdhsa_user_sgpr_queue_ptr 0
		.amdhsa_user_sgpr_kernarg_segment_ptr 1
		.amdhsa_user_sgpr_dispatch_id 0
		.amdhsa_user_sgpr_flat_scratch_init 0
		.amdhsa_user_sgpr_private_segment_size 0
		.amdhsa_uses_dynamic_stack 0
		.amdhsa_system_sgpr_private_segment_wavefront_offset 0
		.amdhsa_system_sgpr_workgroup_id_x 1
		.amdhsa_system_sgpr_workgroup_id_y 0
		.amdhsa_system_sgpr_workgroup_id_z 0
		.amdhsa_system_sgpr_workgroup_info 0
		.amdhsa_system_vgpr_workitem_id 0
		.amdhsa_next_free_vgpr 33
		.amdhsa_next_free_sgpr 31
		.amdhsa_reserve_vcc 1
		.amdhsa_reserve_flat_scratch 0
		.amdhsa_float_round_mode_32 0
		.amdhsa_float_round_mode_16_64 0
		.amdhsa_float_denorm_mode_32 3
		.amdhsa_float_denorm_mode_16_64 3
		.amdhsa_dx10_clamp 1
		.amdhsa_ieee_mode 1
		.amdhsa_fp16_overflow 0
		.amdhsa_exception_fp_ieee_invalid_op 0
		.amdhsa_exception_fp_denorm_src 0
		.amdhsa_exception_fp_ieee_div_zero 0
		.amdhsa_exception_fp_ieee_overflow 0
		.amdhsa_exception_fp_ieee_underflow 0
		.amdhsa_exception_fp_ieee_inexact 0
		.amdhsa_exception_int_div_zero 0
	.end_amdhsa_kernel
	.text
.Lfunc_end0:
	.size	_ZN19hipPrintfStressTest22kernel_printf_conststrEj, .Lfunc_end0-_ZN19hipPrintfStressTest22kernel_printf_conststrEj
                                        ; -- End function
	.set _ZN19hipPrintfStressTest22kernel_printf_conststrEj.num_vgpr, 33
	.set _ZN19hipPrintfStressTest22kernel_printf_conststrEj.num_agpr, 0
	.set _ZN19hipPrintfStressTest22kernel_printf_conststrEj.numbered_sgpr, 31
	.set _ZN19hipPrintfStressTest22kernel_printf_conststrEj.num_named_barrier, 0
	.set _ZN19hipPrintfStressTest22kernel_printf_conststrEj.private_seg_size, 0
	.set _ZN19hipPrintfStressTest22kernel_printf_conststrEj.uses_vcc, 1
	.set _ZN19hipPrintfStressTest22kernel_printf_conststrEj.uses_flat_scratch, 0
	.set _ZN19hipPrintfStressTest22kernel_printf_conststrEj.has_dyn_sized_stack, 0
	.set _ZN19hipPrintfStressTest22kernel_printf_conststrEj.has_recursion, 0
	.set _ZN19hipPrintfStressTest22kernel_printf_conststrEj.has_indirect_call, 0
	.section	.AMDGPU.csdata,"",@progbits
; Kernel info:
; codeLenInByte = 8036
; TotalNumSgprs: 35
; NumVgprs: 33
; ScratchSize: 0
; MemoryBound: 0
; FloatMode: 240
; IeeeMode: 1
; LDSByteSize: 0 bytes/workgroup (compile time only)
; SGPRBlocks: 4
; VGPRBlocks: 8
; NumSGPRsForWavesPerEU: 35
; NumVGPRsForWavesPerEU: 33
; Occupancy: 7
; WaveLimiterHint : 1
; COMPUTE_PGM_RSRC2:SCRATCH_EN: 0
; COMPUTE_PGM_RSRC2:USER_SGPR: 6
; COMPUTE_PGM_RSRC2:TRAP_HANDLER: 0
; COMPUTE_PGM_RSRC2:TGID_X_EN: 1
; COMPUTE_PGM_RSRC2:TGID_Y_EN: 0
; COMPUTE_PGM_RSRC2:TGID_Z_EN: 0
; COMPUTE_PGM_RSRC2:TIDIG_COMP_CNT: 0
	.text
	.protected	_ZN19hipPrintfStressTest32kernel_printf_two_conditionalstrEj ; -- Begin function _ZN19hipPrintfStressTest32kernel_printf_two_conditionalstrEj
	.globl	_ZN19hipPrintfStressTest32kernel_printf_two_conditionalstrEj
	.p2align	8
	.type	_ZN19hipPrintfStressTest32kernel_printf_two_conditionalstrEj,@function
_ZN19hipPrintfStressTest32kernel_printf_two_conditionalstrEj: ; @_ZN19hipPrintfStressTest32kernel_printf_two_conditionalstrEj
; %bb.0:
	s_load_dword s0, s[4:5], 0x14
	s_load_dword s33, s[4:5], 0x0
	s_add_u32 s8, s4, 8
	s_addc_u32 s9, s5, 0
	s_waitcnt lgkmcnt(0)
	s_mul_i32 s6, s6, s0
	v_add_u32_e32 v0, s6, v0
	s_cmp_lg_u32 s33, 0
	v_and_b32_e32 v0, 1, v0
	s_cselect_b64 s[0:1], -1, 0
	v_cmp_eq_u32_e32 vcc, 1, v0
	v_cndmask_b32_e64 v0, 0, 1, s[0:1]
	v_cmp_ne_u32_e64 s[0:1], 1, v0
	s_and_saveexec_b64 s[2:3], vcc
	s_xor_b64 s[10:11], exec, s[2:3]
	s_cbranch_execz .LBB1_258
; %bb.1:
	s_and_b64 vcc, exec, s[0:1]
	s_cbranch_vccnz .LBB1_258
; %bb.2:
	s_load_dwordx2 s[12:13], s[8:9], 0x50
	s_getpc_b64 s[2:3]
	s_add_u32 s2, s2, .str@rel32@lo+4
	s_addc_u32 s3, s3, .str@rel32@hi+12
	s_cmp_lg_u64 s[2:3], 0
	s_cselect_b64 s[14:15], -1, 0
	s_getpc_b64 s[2:3]
	s_add_u32 s2, s2, .str.3@rel32@lo+4
	s_addc_u32 s3, s3, .str.3@rel32@hi+12
	s_mov_b32 s4, 0
	v_mbcnt_lo_u32_b32 v0, -1, 0
	s_cmp_lg_u64 s[2:3], 0
	v_mbcnt_hi_u32_b32 v31, -1, v0
	v_mov_b32_e32 v2, 0
	s_cselect_b64 s[16:17], -1, 0
	s_mov_b32 s5, s4
	s_mov_b32 s6, s4
	;; [unrolled: 1-line block ×3, first 2 shown]
	s_movk_i32 s34, 0xff1f
	s_movk_i32 s35, 0xff1d
	v_mov_b32_e32 v5, 2
	v_mov_b32_e32 v6, 1
	;; [unrolled: 1-line block ×3, first 2 shown]
	s_mov_b32 s36, s4
	s_branch .LBB1_5
.LBB1_3:                                ;   in Loop: Header=BB1_5 Depth=1
	s_or_b64 exec, exec, s[20:21]
.LBB1_4:                                ;   in Loop: Header=BB1_5 Depth=1
	s_add_i32 s36, s36, 1
	s_cmp_lg_u32 s36, s33
	s_cbranch_scc0 .LBB1_258
.LBB1_5:                                ; =>This Loop Header: Depth=1
                                        ;     Child Loop BB1_8 Depth 2
                                        ;     Child Loop BB1_16 Depth 2
	;; [unrolled: 1-line block ×9, first 2 shown]
                                        ;       Child Loop BB1_37 Depth 3
                                        ;       Child Loop BB1_45 Depth 3
	;; [unrolled: 1-line block ×11, first 2 shown]
                                        ;     Child Loop BB1_235 Depth 2
                                        ;     Child Loop BB1_243 Depth 2
	;; [unrolled: 1-line block ×5, first 2 shown]
                                        ;       Child Loop BB1_123 Depth 3
                                        ;       Child Loop BB1_131 Depth 3
	;; [unrolled: 1-line block ×11, first 2 shown]
	v_readfirstlane_b32 s2, v31
	v_mov_b32_e32 v3, 0
	v_mov_b32_e32 v4, 0
	v_cmp_eq_u32_e64 s[2:3], s2, v31
	s_and_saveexec_b64 s[18:19], s[2:3]
	s_cbranch_execz .LBB1_11
; %bb.6:                                ;   in Loop: Header=BB1_5 Depth=1
	s_waitcnt lgkmcnt(0)
	global_load_dwordx2 v[9:10], v2, s[12:13] offset:24 glc
	s_waitcnt vmcnt(0)
	buffer_wbinvl1_vol
	global_load_dwordx2 v[3:4], v2, s[12:13] offset:40
	global_load_dwordx2 v[7:8], v2, s[12:13]
	s_waitcnt vmcnt(1)
	v_and_b32_e32 v1, v3, v9
	v_and_b32_e32 v3, v4, v10
	v_mul_lo_u32 v3, v3, 24
	v_mul_hi_u32 v4, v1, 24
	v_mul_lo_u32 v1, v1, 24
	v_add_u32_e32 v4, v4, v3
	s_waitcnt vmcnt(0)
	v_add_co_u32_e32 v3, vcc, v7, v1
	v_addc_co_u32_e32 v4, vcc, v8, v4, vcc
	global_load_dwordx2 v[7:8], v[3:4], off glc
	s_waitcnt vmcnt(0)
	global_atomic_cmpswap_x2 v[3:4], v2, v[7:10], s[12:13] offset:24 glc
	s_waitcnt vmcnt(0)
	buffer_wbinvl1_vol
	v_cmp_ne_u64_e32 vcc, v[3:4], v[9:10]
	s_and_saveexec_b64 s[20:21], vcc
	s_cbranch_execz .LBB1_10
; %bb.7:                                ;   in Loop: Header=BB1_5 Depth=1
	s_mov_b64 s[22:23], 0
.LBB1_8:                                ;   Parent Loop BB1_5 Depth=1
                                        ; =>  This Inner Loop Header: Depth=2
	s_sleep 1
	global_load_dwordx2 v[7:8], v2, s[12:13] offset:40
	global_load_dwordx2 v[11:12], v2, s[12:13]
	v_mov_b32_e32 v10, v4
	v_mov_b32_e32 v9, v3
	s_waitcnt vmcnt(1)
	v_and_b32_e32 v1, v7, v9
	s_waitcnt vmcnt(0)
	v_mad_u64_u32 v[3:4], s[24:25], v1, 24, v[11:12]
	v_and_b32_e32 v7, v8, v10
	v_mov_b32_e32 v1, v4
	v_mad_u64_u32 v[7:8], s[24:25], v7, 24, v[1:2]
	v_mov_b32_e32 v4, v7
	global_load_dwordx2 v[7:8], v[3:4], off glc
	s_waitcnt vmcnt(0)
	global_atomic_cmpswap_x2 v[3:4], v2, v[7:10], s[12:13] offset:24 glc
	s_waitcnt vmcnt(0)
	buffer_wbinvl1_vol
	v_cmp_eq_u64_e32 vcc, v[3:4], v[9:10]
	s_or_b64 s[22:23], vcc, s[22:23]
	s_andn2_b64 exec, exec, s[22:23]
	s_cbranch_execnz .LBB1_8
; %bb.9:                                ;   in Loop: Header=BB1_5 Depth=1
	s_or_b64 exec, exec, s[22:23]
.LBB1_10:                               ;   in Loop: Header=BB1_5 Depth=1
	s_or_b64 exec, exec, s[20:21]
.LBB1_11:                               ;   in Loop: Header=BB1_5 Depth=1
	s_or_b64 exec, exec, s[18:19]
	s_waitcnt lgkmcnt(0)
	global_load_dwordx2 v[11:12], v2, s[12:13] offset:40
	global_load_dwordx4 v[7:10], v2, s[12:13]
	v_readfirstlane_b32 s19, v4
	v_readfirstlane_b32 s18, v3
	s_mov_b64 s[20:21], exec
	s_waitcnt vmcnt(1)
	v_readfirstlane_b32 s22, v11
	v_readfirstlane_b32 s23, v12
	s_and_b64 s[22:23], s[22:23], s[18:19]
	s_mul_i32 s24, s23, 24
	s_mul_hi_u32 s25, s22, 24
	s_mul_i32 s26, s22, 24
	s_add_i32 s24, s25, s24
	v_mov_b32_e32 v1, s24
	s_waitcnt vmcnt(0)
	v_add_co_u32_e32 v11, vcc, s26, v7
	v_addc_co_u32_e32 v12, vcc, v8, v1, vcc
	s_and_saveexec_b64 s[24:25], s[2:3]
	s_cbranch_execz .LBB1_13
; %bb.12:                               ;   in Loop: Header=BB1_5 Depth=1
	v_mov_b32_e32 v3, s20
	v_mov_b32_e32 v4, s21
	global_store_dwordx4 v[11:12], v[3:6], off offset:8
.LBB1_13:                               ;   in Loop: Header=BB1_5 Depth=1
	s_or_b64 exec, exec, s[24:25]
	s_lshl_b64 s[20:21], s[22:23], 12
	v_mov_b32_e32 v1, s21
	v_add_co_u32_e32 v13, vcc, s20, v9
	v_addc_co_u32_e32 v14, vcc, v10, v1, vcc
	v_mov_b32_e32 v18, s7
	v_lshlrev_b32_e32 v32, 6, v31
	v_mov_b32_e32 v1, v2
	v_mov_b32_e32 v3, v2
	v_readfirstlane_b32 s20, v13
	v_readfirstlane_b32 s21, v14
	v_mov_b32_e32 v17, s6
	v_mov_b32_e32 v16, s5
	;; [unrolled: 1-line block ×3, first 2 shown]
	s_nop 1
	global_store_dwordx4 v32, v[0:3], s[20:21]
	global_store_dwordx4 v32, v[15:18], s[20:21] offset:16
	global_store_dwordx4 v32, v[15:18], s[20:21] offset:32
	;; [unrolled: 1-line block ×3, first 2 shown]
	s_and_saveexec_b64 s[20:21], s[2:3]
	s_cbranch_execz .LBB1_21
; %bb.14:                               ;   in Loop: Header=BB1_5 Depth=1
	global_load_dwordx2 v[17:18], v2, s[12:13] offset:32 glc
	global_load_dwordx2 v[3:4], v2, s[12:13] offset:40
	v_mov_b32_e32 v15, s18
	v_mov_b32_e32 v16, s19
	s_waitcnt vmcnt(0)
	v_readfirstlane_b32 s22, v3
	v_readfirstlane_b32 s23, v4
	s_and_b64 s[22:23], s[22:23], s[18:19]
	s_mul_i32 s23, s23, 24
	s_mul_hi_u32 s24, s22, 24
	s_mul_i32 s22, s22, 24
	s_add_i32 s23, s24, s23
	v_mov_b32_e32 v1, s23
	v_add_co_u32_e32 v3, vcc, s22, v7
	v_addc_co_u32_e32 v4, vcc, v8, v1, vcc
	global_store_dwordx2 v[3:4], v[17:18], off
	s_waitcnt vmcnt(0)
	global_atomic_cmpswap_x2 v[9:10], v2, v[15:18], s[12:13] offset:32 glc
	s_waitcnt vmcnt(0)
	v_cmp_ne_u64_e32 vcc, v[9:10], v[17:18]
	s_and_saveexec_b64 s[22:23], vcc
	s_cbranch_execz .LBB1_17
; %bb.15:                               ;   in Loop: Header=BB1_5 Depth=1
	s_mov_b64 s[24:25], 0
.LBB1_16:                               ;   Parent Loop BB1_5 Depth=1
                                        ; =>  This Inner Loop Header: Depth=2
	s_sleep 1
	global_store_dwordx2 v[3:4], v[9:10], off
	v_mov_b32_e32 v7, s18
	v_mov_b32_e32 v8, s19
	s_waitcnt vmcnt(0)
	global_atomic_cmpswap_x2 v[7:8], v2, v[7:10], s[12:13] offset:32 glc
	s_waitcnt vmcnt(0)
	v_cmp_eq_u64_e32 vcc, v[7:8], v[9:10]
	v_mov_b32_e32 v10, v8
	s_or_b64 s[24:25], vcc, s[24:25]
	v_mov_b32_e32 v9, v7
	s_andn2_b64 exec, exec, s[24:25]
	s_cbranch_execnz .LBB1_16
.LBB1_17:                               ;   in Loop: Header=BB1_5 Depth=1
	s_or_b64 exec, exec, s[22:23]
	global_load_dwordx2 v[3:4], v2, s[12:13] offset:16
	s_mov_b64 s[24:25], exec
	v_mbcnt_lo_u32_b32 v1, s24, 0
	v_mbcnt_hi_u32_b32 v1, s25, v1
	v_cmp_eq_u32_e32 vcc, 0, v1
	s_and_saveexec_b64 s[22:23], vcc
	s_cbranch_execz .LBB1_19
; %bb.18:                               ;   in Loop: Header=BB1_5 Depth=1
	s_bcnt1_i32_b64 s24, s[24:25]
	v_mov_b32_e32 v1, s24
	s_waitcnt vmcnt(0)
	global_atomic_add_x2 v[3:4], v[1:2], off offset:8
.LBB1_19:                               ;   in Loop: Header=BB1_5 Depth=1
	s_or_b64 exec, exec, s[22:23]
	s_waitcnt vmcnt(0)
	global_load_dwordx2 v[7:8], v[3:4], off offset:16
	s_waitcnt vmcnt(0)
	v_cmp_eq_u64_e32 vcc, 0, v[7:8]
	s_cbranch_vccnz .LBB1_21
; %bb.20:                               ;   in Loop: Header=BB1_5 Depth=1
	global_load_dword v1, v[3:4], off offset:24
	s_waitcnt vmcnt(0)
	v_readfirstlane_b32 s22, v1
	s_and_b32 m0, s22, 0xffffff
	global_store_dwordx2 v[7:8], v[1:2], off
	s_sendmsg sendmsg(MSG_INTERRUPT)
.LBB1_21:                               ;   in Loop: Header=BB1_5 Depth=1
	s_or_b64 exec, exec, s[20:21]
	v_add_co_u32_e32 v3, vcc, v13, v32
	v_addc_co_u32_e32 v4, vcc, 0, v14, vcc
	s_branch .LBB1_25
.LBB1_22:                               ;   in Loop: Header=BB1_25 Depth=2
	s_or_b64 exec, exec, s[20:21]
	v_readfirstlane_b32 s20, v1
	s_cmp_eq_u32 s20, 0
	s_cbranch_scc1 .LBB1_24
; %bb.23:                               ;   in Loop: Header=BB1_25 Depth=2
	s_sleep 1
	s_cbranch_execnz .LBB1_25
	s_branch .LBB1_27
.LBB1_24:                               ;   in Loop: Header=BB1_5 Depth=1
	s_branch .LBB1_27
.LBB1_25:                               ;   Parent Loop BB1_5 Depth=1
                                        ; =>  This Inner Loop Header: Depth=2
	v_mov_b32_e32 v1, 1
	s_and_saveexec_b64 s[20:21], s[2:3]
	s_cbranch_execz .LBB1_22
; %bb.26:                               ;   in Loop: Header=BB1_25 Depth=2
	global_load_dword v1, v[11:12], off offset:20 glc
	s_waitcnt vmcnt(0)
	buffer_wbinvl1_vol
	v_and_b32_e32 v1, 1, v1
	s_branch .LBB1_22
.LBB1_27:                               ;   in Loop: Header=BB1_5 Depth=1
	global_load_dwordx2 v[11:12], v[3:4], off
	s_and_saveexec_b64 s[20:21], s[2:3]
	s_cbranch_execz .LBB1_31
; %bb.28:                               ;   in Loop: Header=BB1_5 Depth=1
	global_load_dwordx2 v[3:4], v2, s[12:13] offset:40
	global_load_dwordx2 v[15:16], v2, s[12:13] offset:24 glc
	global_load_dwordx2 v[7:8], v2, s[12:13]
	s_waitcnt vmcnt(2)
	v_readfirstlane_b32 s22, v3
	v_readfirstlane_b32 s23, v4
	s_add_u32 s24, s22, 1
	s_addc_u32 s25, s23, 0
	s_add_u32 s2, s24, s18
	s_addc_u32 s3, s25, s19
	s_cmp_eq_u64 s[2:3], 0
	s_cselect_b32 s3, s25, s3
	s_cselect_b32 s2, s24, s2
	s_and_b64 s[18:19], s[2:3], s[22:23]
	s_mul_i32 s19, s19, 24
	s_mul_hi_u32 s22, s18, 24
	s_mul_i32 s18, s18, 24
	s_add_i32 s19, s22, s19
	v_mov_b32_e32 v1, s19
	s_waitcnt vmcnt(0)
	v_add_co_u32_e32 v3, vcc, s18, v7
	v_addc_co_u32_e32 v4, vcc, v8, v1, vcc
	v_mov_b32_e32 v13, s2
	global_store_dwordx2 v[3:4], v[15:16], off
	v_mov_b32_e32 v14, s3
	s_waitcnt vmcnt(0)
	global_atomic_cmpswap_x2 v[9:10], v2, v[13:16], s[12:13] offset:24 glc
	s_waitcnt vmcnt(0)
	v_cmp_ne_u64_e32 vcc, v[9:10], v[15:16]
	s_and_b64 exec, exec, vcc
	s_cbranch_execz .LBB1_31
; %bb.29:                               ;   in Loop: Header=BB1_5 Depth=1
	s_mov_b64 s[18:19], 0
.LBB1_30:                               ;   Parent Loop BB1_5 Depth=1
                                        ; =>  This Inner Loop Header: Depth=2
	s_sleep 1
	global_store_dwordx2 v[3:4], v[9:10], off
	v_mov_b32_e32 v7, s2
	v_mov_b32_e32 v8, s3
	s_waitcnt vmcnt(0)
	global_atomic_cmpswap_x2 v[7:8], v2, v[7:10], s[12:13] offset:24 glc
	s_waitcnt vmcnt(0)
	v_cmp_eq_u64_e32 vcc, v[7:8], v[9:10]
	v_mov_b32_e32 v10, v8
	s_or_b64 s[18:19], vcc, s[18:19]
	v_mov_b32_e32 v9, v7
	s_andn2_b64 exec, exec, s[18:19]
	s_cbranch_execnz .LBB1_30
.LBB1_31:                               ;   in Loop: Header=BB1_5 Depth=1
	s_or_b64 exec, exec, s[20:21]
	s_and_b64 vcc, exec, s[14:15]
	s_cbranch_vccz .LBB1_203
; %bb.32:                               ;   in Loop: Header=BB1_5 Depth=1
	s_waitcnt vmcnt(0)
	v_and_b32_e32 v7, -3, v11
	v_mov_b32_e32 v8, v12
	s_mov_b64 s[20:21], 3
	s_getpc_b64 s[18:19]
	s_add_u32 s18, s18, .str@rel32@lo+4
	s_addc_u32 s19, s19, .str@rel32@hi+12
	s_branch .LBB1_34
.LBB1_33:                               ;   in Loop: Header=BB1_34 Depth=2
	s_or_b64 exec, exec, s[26:27]
	s_sub_u32 s20, s20, s22
	s_subb_u32 s21, s21, s23
	s_add_u32 s18, s18, s22
	s_addc_u32 s19, s19, s23
	s_cmp_lg_u64 s[20:21], 0
	s_cbranch_scc0 .LBB1_116
.LBB1_34:                               ;   Parent Loop BB1_5 Depth=1
                                        ; =>  This Loop Header: Depth=2
                                        ;       Child Loop BB1_37 Depth 3
                                        ;       Child Loop BB1_45 Depth 3
	;; [unrolled: 1-line block ×11, first 2 shown]
	v_cmp_lt_u64_e64 s[2:3], s[20:21], 56
	v_cmp_gt_u64_e64 s[24:25], s[20:21], 7
	s_and_b64 s[2:3], s[2:3], exec
	s_cselect_b32 s23, s21, 0
	s_cselect_b32 s22, s20, 56
	s_add_u32 s2, s18, 8
	s_addc_u32 s3, s19, 0
	s_and_b64 vcc, exec, s[24:25]
	s_cbranch_vccnz .LBB1_38
; %bb.35:                               ;   in Loop: Header=BB1_34 Depth=2
	s_cmp_eq_u64 s[20:21], 0
	s_cbranch_scc1 .LBB1_39
; %bb.36:                               ;   in Loop: Header=BB1_34 Depth=2
	v_mov_b32_e32 v9, 0
	s_lshl_b64 s[2:3], s[22:23], 3
	s_mov_b64 s[24:25], 0
	v_mov_b32_e32 v10, 0
	s_mov_b64 s[26:27], s[18:19]
.LBB1_37:                               ;   Parent Loop BB1_5 Depth=1
                                        ;     Parent Loop BB1_34 Depth=2
                                        ; =>    This Inner Loop Header: Depth=3
	global_load_ubyte v1, v2, s[26:27]
	s_waitcnt vmcnt(0)
	v_and_b32_e32 v1, 0xffff, v1
	v_lshlrev_b64 v[3:4], s24, v[1:2]
	s_add_u32 s24, s24, 8
	s_addc_u32 s25, s25, 0
	s_add_u32 s26, s26, 1
	s_addc_u32 s27, s27, 0
	v_or_b32_e32 v9, v3, v9
	s_cmp_lg_u32 s2, s24
	v_or_b32_e32 v10, v4, v10
	s_cbranch_scc1 .LBB1_37
	s_branch .LBB1_40
.LBB1_38:                               ;   in Loop: Header=BB1_34 Depth=2
	s_mov_b32 s28, 0
	s_branch .LBB1_41
.LBB1_39:                               ;   in Loop: Header=BB1_34 Depth=2
	v_mov_b32_e32 v9, 0
	v_mov_b32_e32 v10, 0
.LBB1_40:                               ;   in Loop: Header=BB1_34 Depth=2
	s_mov_b64 s[2:3], s[18:19]
	s_mov_b32 s28, 0
	s_cbranch_execnz .LBB1_42
.LBB1_41:                               ;   in Loop: Header=BB1_34 Depth=2
	global_load_dwordx2 v[9:10], v2, s[18:19]
	s_add_i32 s28, s22, -8
.LBB1_42:                               ;   in Loop: Header=BB1_34 Depth=2
	s_add_u32 s24, s2, 8
	s_addc_u32 s25, s3, 0
	s_cmp_gt_u32 s28, 7
	s_cbranch_scc1 .LBB1_46
; %bb.43:                               ;   in Loop: Header=BB1_34 Depth=2
	s_cmp_eq_u32 s28, 0
	s_cbranch_scc1 .LBB1_47
; %bb.44:                               ;   in Loop: Header=BB1_34 Depth=2
	v_mov_b32_e32 v13, 0
	s_mov_b64 s[24:25], 0
	v_mov_b32_e32 v14, 0
	s_mov_b64 s[26:27], 0
.LBB1_45:                               ;   Parent Loop BB1_5 Depth=1
                                        ;     Parent Loop BB1_34 Depth=2
                                        ; =>    This Inner Loop Header: Depth=3
	s_add_u32 s30, s2, s26
	s_addc_u32 s31, s3, s27
	global_load_ubyte v1, v2, s[30:31]
	s_add_u32 s26, s26, 1
	s_addc_u32 s27, s27, 0
	s_waitcnt vmcnt(0)
	v_and_b32_e32 v1, 0xffff, v1
	v_lshlrev_b64 v[3:4], s24, v[1:2]
	s_add_u32 s24, s24, 8
	s_addc_u32 s25, s25, 0
	v_or_b32_e32 v13, v3, v13
	s_cmp_lg_u32 s28, s26
	v_or_b32_e32 v14, v4, v14
	s_cbranch_scc1 .LBB1_45
	s_branch .LBB1_48
.LBB1_46:                               ;   in Loop: Header=BB1_34 Depth=2
                                        ; implicit-def: $vgpr13_vgpr14
	s_mov_b32 s29, 0
	s_branch .LBB1_49
.LBB1_47:                               ;   in Loop: Header=BB1_34 Depth=2
	v_mov_b32_e32 v13, 0
	v_mov_b32_e32 v14, 0
.LBB1_48:                               ;   in Loop: Header=BB1_34 Depth=2
	s_mov_b64 s[24:25], s[2:3]
	s_mov_b32 s29, 0
	s_cbranch_execnz .LBB1_50
.LBB1_49:                               ;   in Loop: Header=BB1_34 Depth=2
	global_load_dwordx2 v[13:14], v2, s[2:3]
	s_add_i32 s29, s28, -8
.LBB1_50:                               ;   in Loop: Header=BB1_34 Depth=2
	s_add_u32 s2, s24, 8
	s_addc_u32 s3, s25, 0
	s_cmp_gt_u32 s29, 7
	s_cbranch_scc1 .LBB1_54
; %bb.51:                               ;   in Loop: Header=BB1_34 Depth=2
	s_cmp_eq_u32 s29, 0
	s_cbranch_scc1 .LBB1_55
; %bb.52:                               ;   in Loop: Header=BB1_34 Depth=2
	v_mov_b32_e32 v15, 0
	s_mov_b64 s[2:3], 0
	v_mov_b32_e32 v16, 0
	s_mov_b64 s[26:27], 0
.LBB1_53:                               ;   Parent Loop BB1_5 Depth=1
                                        ;     Parent Loop BB1_34 Depth=2
                                        ; =>    This Inner Loop Header: Depth=3
	s_add_u32 s30, s24, s26
	s_addc_u32 s31, s25, s27
	global_load_ubyte v1, v2, s[30:31]
	s_add_u32 s26, s26, 1
	s_addc_u32 s27, s27, 0
	s_waitcnt vmcnt(0)
	v_and_b32_e32 v1, 0xffff, v1
	v_lshlrev_b64 v[3:4], s2, v[1:2]
	s_add_u32 s2, s2, 8
	s_addc_u32 s3, s3, 0
	v_or_b32_e32 v15, v3, v15
	s_cmp_lg_u32 s29, s26
	v_or_b32_e32 v16, v4, v16
	s_cbranch_scc1 .LBB1_53
	s_branch .LBB1_56
.LBB1_54:                               ;   in Loop: Header=BB1_34 Depth=2
	s_mov_b32 s28, 0
	s_branch .LBB1_57
.LBB1_55:                               ;   in Loop: Header=BB1_34 Depth=2
	v_mov_b32_e32 v15, 0
	v_mov_b32_e32 v16, 0
.LBB1_56:                               ;   in Loop: Header=BB1_34 Depth=2
	s_mov_b64 s[2:3], s[24:25]
	s_mov_b32 s28, 0
	s_cbranch_execnz .LBB1_58
.LBB1_57:                               ;   in Loop: Header=BB1_34 Depth=2
	global_load_dwordx2 v[15:16], v2, s[24:25]
	s_add_i32 s28, s29, -8
.LBB1_58:                               ;   in Loop: Header=BB1_34 Depth=2
	s_add_u32 s24, s2, 8
	s_addc_u32 s25, s3, 0
	s_cmp_gt_u32 s28, 7
	s_cbranch_scc1 .LBB1_62
; %bb.59:                               ;   in Loop: Header=BB1_34 Depth=2
	s_cmp_eq_u32 s28, 0
	s_cbranch_scc1 .LBB1_63
; %bb.60:                               ;   in Loop: Header=BB1_34 Depth=2
	v_mov_b32_e32 v17, 0
	s_mov_b64 s[24:25], 0
	v_mov_b32_e32 v18, 0
	s_mov_b64 s[26:27], 0
.LBB1_61:                               ;   Parent Loop BB1_5 Depth=1
                                        ;     Parent Loop BB1_34 Depth=2
                                        ; =>    This Inner Loop Header: Depth=3
	s_add_u32 s30, s2, s26
	s_addc_u32 s31, s3, s27
	global_load_ubyte v1, v2, s[30:31]
	s_add_u32 s26, s26, 1
	s_addc_u32 s27, s27, 0
	s_waitcnt vmcnt(0)
	v_and_b32_e32 v1, 0xffff, v1
	v_lshlrev_b64 v[3:4], s24, v[1:2]
	s_add_u32 s24, s24, 8
	s_addc_u32 s25, s25, 0
	v_or_b32_e32 v17, v3, v17
	s_cmp_lg_u32 s28, s26
	v_or_b32_e32 v18, v4, v18
	s_cbranch_scc1 .LBB1_61
	s_branch .LBB1_64
.LBB1_62:                               ;   in Loop: Header=BB1_34 Depth=2
                                        ; implicit-def: $vgpr17_vgpr18
	s_mov_b32 s29, 0
	s_branch .LBB1_65
.LBB1_63:                               ;   in Loop: Header=BB1_34 Depth=2
	v_mov_b32_e32 v17, 0
	v_mov_b32_e32 v18, 0
.LBB1_64:                               ;   in Loop: Header=BB1_34 Depth=2
	s_mov_b64 s[24:25], s[2:3]
	s_mov_b32 s29, 0
	s_cbranch_execnz .LBB1_66
.LBB1_65:                               ;   in Loop: Header=BB1_34 Depth=2
	global_load_dwordx2 v[17:18], v2, s[2:3]
	s_add_i32 s29, s28, -8
.LBB1_66:                               ;   in Loop: Header=BB1_34 Depth=2
	s_add_u32 s2, s24, 8
	s_addc_u32 s3, s25, 0
	s_cmp_gt_u32 s29, 7
	s_cbranch_scc1 .LBB1_70
; %bb.67:                               ;   in Loop: Header=BB1_34 Depth=2
	s_cmp_eq_u32 s29, 0
	s_cbranch_scc1 .LBB1_71
; %bb.68:                               ;   in Loop: Header=BB1_34 Depth=2
	v_mov_b32_e32 v19, 0
	s_mov_b64 s[2:3], 0
	v_mov_b32_e32 v20, 0
	s_mov_b64 s[26:27], 0
.LBB1_69:                               ;   Parent Loop BB1_5 Depth=1
                                        ;     Parent Loop BB1_34 Depth=2
                                        ; =>    This Inner Loop Header: Depth=3
	s_add_u32 s30, s24, s26
	s_addc_u32 s31, s25, s27
	global_load_ubyte v1, v2, s[30:31]
	s_add_u32 s26, s26, 1
	s_addc_u32 s27, s27, 0
	s_waitcnt vmcnt(0)
	v_and_b32_e32 v1, 0xffff, v1
	v_lshlrev_b64 v[3:4], s2, v[1:2]
	s_add_u32 s2, s2, 8
	s_addc_u32 s3, s3, 0
	v_or_b32_e32 v19, v3, v19
	s_cmp_lg_u32 s29, s26
	v_or_b32_e32 v20, v4, v20
	s_cbranch_scc1 .LBB1_69
	s_branch .LBB1_72
.LBB1_70:                               ;   in Loop: Header=BB1_34 Depth=2
	s_mov_b32 s28, 0
	s_branch .LBB1_73
.LBB1_71:                               ;   in Loop: Header=BB1_34 Depth=2
	v_mov_b32_e32 v19, 0
	v_mov_b32_e32 v20, 0
.LBB1_72:                               ;   in Loop: Header=BB1_34 Depth=2
	s_mov_b64 s[2:3], s[24:25]
	s_mov_b32 s28, 0
	s_cbranch_execnz .LBB1_74
.LBB1_73:                               ;   in Loop: Header=BB1_34 Depth=2
	global_load_dwordx2 v[19:20], v2, s[24:25]
	s_add_i32 s28, s29, -8
.LBB1_74:                               ;   in Loop: Header=BB1_34 Depth=2
	s_add_u32 s24, s2, 8
	s_addc_u32 s25, s3, 0
	s_cmp_gt_u32 s28, 7
	s_cbranch_scc1 .LBB1_78
; %bb.75:                               ;   in Loop: Header=BB1_34 Depth=2
	s_cmp_eq_u32 s28, 0
	s_cbranch_scc1 .LBB1_79
; %bb.76:                               ;   in Loop: Header=BB1_34 Depth=2
	v_mov_b32_e32 v21, 0
	s_mov_b64 s[24:25], 0
	v_mov_b32_e32 v22, 0
	s_mov_b64 s[26:27], 0
.LBB1_77:                               ;   Parent Loop BB1_5 Depth=1
                                        ;     Parent Loop BB1_34 Depth=2
                                        ; =>    This Inner Loop Header: Depth=3
	s_add_u32 s30, s2, s26
	s_addc_u32 s31, s3, s27
	global_load_ubyte v1, v2, s[30:31]
	s_add_u32 s26, s26, 1
	s_addc_u32 s27, s27, 0
	s_waitcnt vmcnt(0)
	v_and_b32_e32 v1, 0xffff, v1
	v_lshlrev_b64 v[3:4], s24, v[1:2]
	s_add_u32 s24, s24, 8
	s_addc_u32 s25, s25, 0
	v_or_b32_e32 v21, v3, v21
	s_cmp_lg_u32 s28, s26
	v_or_b32_e32 v22, v4, v22
	s_cbranch_scc1 .LBB1_77
	s_branch .LBB1_80
.LBB1_78:                               ;   in Loop: Header=BB1_34 Depth=2
                                        ; implicit-def: $vgpr21_vgpr22
	s_mov_b32 s29, 0
	s_branch .LBB1_81
.LBB1_79:                               ;   in Loop: Header=BB1_34 Depth=2
	v_mov_b32_e32 v21, 0
	v_mov_b32_e32 v22, 0
.LBB1_80:                               ;   in Loop: Header=BB1_34 Depth=2
	s_mov_b64 s[24:25], s[2:3]
	s_mov_b32 s29, 0
	s_cbranch_execnz .LBB1_82
.LBB1_81:                               ;   in Loop: Header=BB1_34 Depth=2
	global_load_dwordx2 v[21:22], v2, s[2:3]
	s_add_i32 s29, s28, -8
.LBB1_82:                               ;   in Loop: Header=BB1_34 Depth=2
	s_cmp_gt_u32 s29, 7
	s_cbranch_scc1 .LBB1_86
; %bb.83:                               ;   in Loop: Header=BB1_34 Depth=2
	s_cmp_eq_u32 s29, 0
	s_cbranch_scc1 .LBB1_87
; %bb.84:                               ;   in Loop: Header=BB1_34 Depth=2
	v_mov_b32_e32 v23, 0
	s_mov_b64 s[2:3], 0
	v_mov_b32_e32 v24, 0
	s_mov_b64 s[26:27], s[24:25]
.LBB1_85:                               ;   Parent Loop BB1_5 Depth=1
                                        ;     Parent Loop BB1_34 Depth=2
                                        ; =>    This Inner Loop Header: Depth=3
	global_load_ubyte v1, v2, s[26:27]
	s_add_i32 s29, s29, -1
	s_waitcnt vmcnt(0)
	v_and_b32_e32 v1, 0xffff, v1
	v_lshlrev_b64 v[3:4], s2, v[1:2]
	s_add_u32 s2, s2, 8
	s_addc_u32 s3, s3, 0
	s_add_u32 s26, s26, 1
	s_addc_u32 s27, s27, 0
	v_or_b32_e32 v23, v3, v23
	s_cmp_lg_u32 s29, 0
	v_or_b32_e32 v24, v4, v24
	s_cbranch_scc1 .LBB1_85
	s_branch .LBB1_88
.LBB1_86:                               ;   in Loop: Header=BB1_34 Depth=2
	s_branch .LBB1_89
.LBB1_87:                               ;   in Loop: Header=BB1_34 Depth=2
	v_mov_b32_e32 v23, 0
	v_mov_b32_e32 v24, 0
.LBB1_88:                               ;   in Loop: Header=BB1_34 Depth=2
	s_cbranch_execnz .LBB1_90
.LBB1_89:                               ;   in Loop: Header=BB1_34 Depth=2
	global_load_dwordx2 v[23:24], v2, s[24:25]
.LBB1_90:                               ;   in Loop: Header=BB1_34 Depth=2
	v_readfirstlane_b32 s2, v31
	v_mov_b32_e32 v3, 0
	v_mov_b32_e32 v4, 0
	v_cmp_eq_u32_e64 s[2:3], s2, v31
	s_and_saveexec_b64 s[24:25], s[2:3]
	s_cbranch_execz .LBB1_96
; %bb.91:                               ;   in Loop: Header=BB1_34 Depth=2
	global_load_dwordx2 v[27:28], v2, s[12:13] offset:24 glc
	s_waitcnt vmcnt(0)
	buffer_wbinvl1_vol
	global_load_dwordx2 v[3:4], v2, s[12:13] offset:40
	global_load_dwordx2 v[25:26], v2, s[12:13]
	s_waitcnt vmcnt(1)
	v_and_b32_e32 v1, v3, v27
	v_and_b32_e32 v3, v4, v28
	v_mul_lo_u32 v3, v3, 24
	v_mul_hi_u32 v4, v1, 24
	v_mul_lo_u32 v1, v1, 24
	v_add_u32_e32 v4, v4, v3
	s_waitcnt vmcnt(0)
	v_add_co_u32_e32 v3, vcc, v25, v1
	v_addc_co_u32_e32 v4, vcc, v26, v4, vcc
	global_load_dwordx2 v[25:26], v[3:4], off glc
	s_waitcnt vmcnt(0)
	global_atomic_cmpswap_x2 v[3:4], v2, v[25:28], s[12:13] offset:24 glc
	s_waitcnt vmcnt(0)
	buffer_wbinvl1_vol
	v_cmp_ne_u64_e32 vcc, v[3:4], v[27:28]
	s_and_saveexec_b64 s[26:27], vcc
	s_cbranch_execz .LBB1_95
; %bb.92:                               ;   in Loop: Header=BB1_34 Depth=2
	s_mov_b64 s[28:29], 0
.LBB1_93:                               ;   Parent Loop BB1_5 Depth=1
                                        ;     Parent Loop BB1_34 Depth=2
                                        ; =>    This Inner Loop Header: Depth=3
	s_sleep 1
	global_load_dwordx2 v[25:26], v2, s[12:13] offset:40
	global_load_dwordx2 v[29:30], v2, s[12:13]
	v_mov_b32_e32 v28, v4
	v_mov_b32_e32 v27, v3
	s_waitcnt vmcnt(1)
	v_and_b32_e32 v1, v25, v27
	s_waitcnt vmcnt(0)
	v_mad_u64_u32 v[3:4], s[30:31], v1, 24, v[29:30]
	v_and_b32_e32 v25, v26, v28
	v_mov_b32_e32 v1, v4
	v_mad_u64_u32 v[25:26], s[30:31], v25, 24, v[1:2]
	v_mov_b32_e32 v4, v25
	global_load_dwordx2 v[25:26], v[3:4], off glc
	s_waitcnt vmcnt(0)
	global_atomic_cmpswap_x2 v[3:4], v2, v[25:28], s[12:13] offset:24 glc
	s_waitcnt vmcnt(0)
	buffer_wbinvl1_vol
	v_cmp_eq_u64_e32 vcc, v[3:4], v[27:28]
	s_or_b64 s[28:29], vcc, s[28:29]
	s_andn2_b64 exec, exec, s[28:29]
	s_cbranch_execnz .LBB1_93
; %bb.94:                               ;   in Loop: Header=BB1_34 Depth=2
	s_or_b64 exec, exec, s[28:29]
.LBB1_95:                               ;   in Loop: Header=BB1_34 Depth=2
	s_or_b64 exec, exec, s[26:27]
.LBB1_96:                               ;   in Loop: Header=BB1_34 Depth=2
	s_or_b64 exec, exec, s[24:25]
	global_load_dwordx2 v[29:30], v2, s[12:13] offset:40
	global_load_dwordx4 v[25:28], v2, s[12:13]
	v_readfirstlane_b32 s25, v4
	v_readfirstlane_b32 s24, v3
	s_mov_b64 s[26:27], exec
	s_waitcnt vmcnt(1)
	v_readfirstlane_b32 s28, v29
	v_readfirstlane_b32 s29, v30
	s_and_b64 s[28:29], s[28:29], s[24:25]
	s_mul_i32 s30, s29, 24
	s_mul_hi_u32 s31, s28, 24
	s_mul_i32 s37, s28, 24
	s_add_i32 s30, s31, s30
	v_mov_b32_e32 v1, s30
	s_waitcnt vmcnt(0)
	v_add_co_u32_e32 v29, vcc, s37, v25
	v_addc_co_u32_e32 v30, vcc, v26, v1, vcc
	s_and_saveexec_b64 s[30:31], s[2:3]
	s_cbranch_execz .LBB1_98
; %bb.97:                               ;   in Loop: Header=BB1_34 Depth=2
	v_mov_b32_e32 v3, s26
	v_mov_b32_e32 v4, s27
	global_store_dwordx4 v[29:30], v[3:6], off offset:8
.LBB1_98:                               ;   in Loop: Header=BB1_34 Depth=2
	s_or_b64 exec, exec, s[30:31]
	s_lshl_b64 s[26:27], s[28:29], 12
	v_mov_b32_e32 v1, s27
	v_add_co_u32_e32 v27, vcc, s26, v27
	v_addc_co_u32_e32 v28, vcc, v28, v1, vcc
	v_cmp_lt_u64_e64 vcc, s[20:21], 57
	v_and_b32_e32 v1, 2, v11
	s_lshl_b32 s26, s22, 2
	v_cndmask_b32_e32 v1, 0, v1, vcc
	s_add_i32 s26, s26, 28
	v_and_b32_e32 v3, 0xffffff1f, v7
	s_and_b32 s26, s26, 0x1e0
	v_or_b32_e32 v1, v3, v1
	v_or_b32_e32 v7, s26, v1
	v_readfirstlane_b32 s26, v27
	v_readfirstlane_b32 s27, v28
	s_nop 4
	global_store_dwordx4 v32, v[7:10], s[26:27]
	global_store_dwordx4 v32, v[13:16], s[26:27] offset:16
	global_store_dwordx4 v32, v[17:20], s[26:27] offset:32
	;; [unrolled: 1-line block ×3, first 2 shown]
	s_and_saveexec_b64 s[26:27], s[2:3]
	s_cbranch_execz .LBB1_106
; %bb.99:                               ;   in Loop: Header=BB1_34 Depth=2
	global_load_dwordx2 v[15:16], v2, s[12:13] offset:32 glc
	global_load_dwordx2 v[3:4], v2, s[12:13] offset:40
	v_mov_b32_e32 v13, s24
	v_mov_b32_e32 v14, s25
	s_waitcnt vmcnt(0)
	v_readfirstlane_b32 s28, v3
	v_readfirstlane_b32 s29, v4
	s_and_b64 s[28:29], s[28:29], s[24:25]
	s_mul_i32 s29, s29, 24
	s_mul_hi_u32 s30, s28, 24
	s_mul_i32 s28, s28, 24
	s_add_i32 s29, s30, s29
	v_mov_b32_e32 v1, s29
	v_add_co_u32_e32 v3, vcc, s28, v25
	v_addc_co_u32_e32 v4, vcc, v26, v1, vcc
	global_store_dwordx2 v[3:4], v[15:16], off
	s_waitcnt vmcnt(0)
	global_atomic_cmpswap_x2 v[9:10], v2, v[13:16], s[12:13] offset:32 glc
	s_waitcnt vmcnt(0)
	v_cmp_ne_u64_e32 vcc, v[9:10], v[15:16]
	s_and_saveexec_b64 s[28:29], vcc
	s_cbranch_execz .LBB1_102
; %bb.100:                              ;   in Loop: Header=BB1_34 Depth=2
	s_mov_b64 s[30:31], 0
.LBB1_101:                              ;   Parent Loop BB1_5 Depth=1
                                        ;     Parent Loop BB1_34 Depth=2
                                        ; =>    This Inner Loop Header: Depth=3
	s_sleep 1
	global_store_dwordx2 v[3:4], v[9:10], off
	v_mov_b32_e32 v7, s24
	v_mov_b32_e32 v8, s25
	s_waitcnt vmcnt(0)
	global_atomic_cmpswap_x2 v[7:8], v2, v[7:10], s[12:13] offset:32 glc
	s_waitcnt vmcnt(0)
	v_cmp_eq_u64_e32 vcc, v[7:8], v[9:10]
	v_mov_b32_e32 v10, v8
	s_or_b64 s[30:31], vcc, s[30:31]
	v_mov_b32_e32 v9, v7
	s_andn2_b64 exec, exec, s[30:31]
	s_cbranch_execnz .LBB1_101
.LBB1_102:                              ;   in Loop: Header=BB1_34 Depth=2
	s_or_b64 exec, exec, s[28:29]
	global_load_dwordx2 v[3:4], v2, s[12:13] offset:16
	s_mov_b64 s[30:31], exec
	v_mbcnt_lo_u32_b32 v1, s30, 0
	v_mbcnt_hi_u32_b32 v1, s31, v1
	v_cmp_eq_u32_e32 vcc, 0, v1
	s_and_saveexec_b64 s[28:29], vcc
	s_cbranch_execz .LBB1_104
; %bb.103:                              ;   in Loop: Header=BB1_34 Depth=2
	s_bcnt1_i32_b64 s30, s[30:31]
	v_mov_b32_e32 v1, s30
	s_waitcnt vmcnt(0)
	global_atomic_add_x2 v[3:4], v[1:2], off offset:8
.LBB1_104:                              ;   in Loop: Header=BB1_34 Depth=2
	s_or_b64 exec, exec, s[28:29]
	s_waitcnt vmcnt(0)
	global_load_dwordx2 v[7:8], v[3:4], off offset:16
	s_waitcnt vmcnt(0)
	v_cmp_eq_u64_e32 vcc, 0, v[7:8]
	s_cbranch_vccnz .LBB1_106
; %bb.105:                              ;   in Loop: Header=BB1_34 Depth=2
	global_load_dword v1, v[3:4], off offset:24
	s_waitcnt vmcnt(0)
	v_readfirstlane_b32 s28, v1
	s_and_b32 m0, s28, 0xffffff
	global_store_dwordx2 v[7:8], v[1:2], off
	s_sendmsg sendmsg(MSG_INTERRUPT)
.LBB1_106:                              ;   in Loop: Header=BB1_34 Depth=2
	s_or_b64 exec, exec, s[26:27]
	v_add_co_u32_e32 v3, vcc, v27, v32
	v_addc_co_u32_e32 v4, vcc, 0, v28, vcc
	s_branch .LBB1_110
.LBB1_107:                              ;   in Loop: Header=BB1_110 Depth=3
	s_or_b64 exec, exec, s[26:27]
	v_readfirstlane_b32 s26, v1
	s_cmp_eq_u32 s26, 0
	s_cbranch_scc1 .LBB1_109
; %bb.108:                              ;   in Loop: Header=BB1_110 Depth=3
	s_sleep 1
	s_cbranch_execnz .LBB1_110
	s_branch .LBB1_112
.LBB1_109:                              ;   in Loop: Header=BB1_34 Depth=2
	s_branch .LBB1_112
.LBB1_110:                              ;   Parent Loop BB1_5 Depth=1
                                        ;     Parent Loop BB1_34 Depth=2
                                        ; =>    This Inner Loop Header: Depth=3
	v_mov_b32_e32 v1, 1
	s_and_saveexec_b64 s[26:27], s[2:3]
	s_cbranch_execz .LBB1_107
; %bb.111:                              ;   in Loop: Header=BB1_110 Depth=3
	global_load_dword v1, v[29:30], off offset:20 glc
	s_waitcnt vmcnt(0)
	buffer_wbinvl1_vol
	v_and_b32_e32 v1, 1, v1
	s_branch .LBB1_107
.LBB1_112:                              ;   in Loop: Header=BB1_34 Depth=2
	global_load_dwordx2 v[7:8], v[3:4], off
	s_and_saveexec_b64 s[26:27], s[2:3]
	s_cbranch_execz .LBB1_33
; %bb.113:                              ;   in Loop: Header=BB1_34 Depth=2
	global_load_dwordx2 v[3:4], v2, s[12:13] offset:40
	global_load_dwordx2 v[17:18], v2, s[12:13] offset:24 glc
	global_load_dwordx2 v[9:10], v2, s[12:13]
	s_waitcnt vmcnt(2)
	v_readfirstlane_b32 s28, v3
	v_readfirstlane_b32 s29, v4
	s_add_u32 s30, s28, 1
	s_addc_u32 s31, s29, 0
	s_add_u32 s2, s30, s24
	s_addc_u32 s3, s31, s25
	s_cmp_eq_u64 s[2:3], 0
	s_cselect_b32 s3, s31, s3
	s_cselect_b32 s2, s30, s2
	s_and_b64 s[24:25], s[2:3], s[28:29]
	s_mul_i32 s25, s25, 24
	s_mul_hi_u32 s28, s24, 24
	s_mul_i32 s24, s24, 24
	s_add_i32 s25, s28, s25
	v_mov_b32_e32 v1, s25
	s_waitcnt vmcnt(0)
	v_add_co_u32_e32 v3, vcc, s24, v9
	v_addc_co_u32_e32 v4, vcc, v10, v1, vcc
	v_mov_b32_e32 v15, s2
	global_store_dwordx2 v[3:4], v[17:18], off
	v_mov_b32_e32 v16, s3
	s_waitcnt vmcnt(0)
	global_atomic_cmpswap_x2 v[15:16], v2, v[15:18], s[12:13] offset:24 glc
	s_waitcnt vmcnt(0)
	v_cmp_ne_u64_e32 vcc, v[15:16], v[17:18]
	s_and_b64 exec, exec, vcc
	s_cbranch_execz .LBB1_33
; %bb.114:                              ;   in Loop: Header=BB1_34 Depth=2
	s_mov_b64 s[24:25], 0
.LBB1_115:                              ;   Parent Loop BB1_5 Depth=1
                                        ;     Parent Loop BB1_34 Depth=2
                                        ; =>    This Inner Loop Header: Depth=3
	s_sleep 1
	global_store_dwordx2 v[3:4], v[15:16], off
	v_mov_b32_e32 v13, s2
	v_mov_b32_e32 v14, s3
	s_waitcnt vmcnt(0)
	global_atomic_cmpswap_x2 v[9:10], v2, v[13:16], s[12:13] offset:24 glc
	s_waitcnt vmcnt(0)
	v_cmp_eq_u64_e32 vcc, v[9:10], v[15:16]
	v_mov_b32_e32 v16, v10
	s_or_b64 s[24:25], vcc, s[24:25]
	v_mov_b32_e32 v15, v9
	s_andn2_b64 exec, exec, s[24:25]
	s_cbranch_execnz .LBB1_115
	s_branch .LBB1_33
.LBB1_116:                              ;   in Loop: Header=BB1_5 Depth=1
.LBB1_117:                              ;   in Loop: Header=BB1_5 Depth=1
	s_and_b64 vcc, exec, s[16:17]
	s_cbranch_vccz .LBB1_231
.LBB1_118:                              ;   in Loop: Header=BB1_5 Depth=1
	s_waitcnt vmcnt(0)
	v_and_b32_e32 v9, -3, v7
	v_mov_b32_e32 v10, v8
	s_mov_b64 s[20:21], 45
	s_getpc_b64 s[18:19]
	s_add_u32 s18, s18, .str.3@rel32@lo+4
	s_addc_u32 s19, s19, .str.3@rel32@hi+12
	s_branch .LBB1_120
.LBB1_119:                              ;   in Loop: Header=BB1_120 Depth=2
	s_or_b64 exec, exec, s[26:27]
	s_sub_u32 s20, s20, s22
	s_subb_u32 s21, s21, s23
	s_add_u32 s18, s18, s22
	s_addc_u32 s19, s19, s23
	s_cmp_lg_u64 s[20:21], 0
	s_cbranch_scc0 .LBB1_202
.LBB1_120:                              ;   Parent Loop BB1_5 Depth=1
                                        ; =>  This Loop Header: Depth=2
                                        ;       Child Loop BB1_123 Depth 3
                                        ;       Child Loop BB1_131 Depth 3
	;; [unrolled: 1-line block ×11, first 2 shown]
	v_cmp_lt_u64_e64 s[2:3], s[20:21], 56
	v_cmp_gt_u64_e64 s[24:25], s[20:21], 7
	s_and_b64 s[2:3], s[2:3], exec
	s_cselect_b32 s23, s21, 0
	s_cselect_b32 s22, s20, 56
	s_add_u32 s2, s18, 8
	s_addc_u32 s3, s19, 0
	s_and_b64 vcc, exec, s[24:25]
	s_cbranch_vccnz .LBB1_124
; %bb.121:                              ;   in Loop: Header=BB1_120 Depth=2
	s_cmp_eq_u64 s[20:21], 0
	s_cbranch_scc1 .LBB1_125
; %bb.122:                              ;   in Loop: Header=BB1_120 Depth=2
	s_waitcnt vmcnt(0)
	v_mov_b32_e32 v11, 0
	s_lshl_b64 s[2:3], s[22:23], 3
	s_mov_b64 s[24:25], 0
	v_mov_b32_e32 v12, 0
	s_mov_b64 s[26:27], s[18:19]
.LBB1_123:                              ;   Parent Loop BB1_5 Depth=1
                                        ;     Parent Loop BB1_120 Depth=2
                                        ; =>    This Inner Loop Header: Depth=3
	global_load_ubyte v1, v2, s[26:27]
	s_waitcnt vmcnt(0)
	v_and_b32_e32 v1, 0xffff, v1
	v_lshlrev_b64 v[3:4], s24, v[1:2]
	s_add_u32 s24, s24, 8
	s_addc_u32 s25, s25, 0
	s_add_u32 s26, s26, 1
	s_addc_u32 s27, s27, 0
	v_or_b32_e32 v11, v3, v11
	s_cmp_lg_u32 s2, s24
	v_or_b32_e32 v12, v4, v12
	s_cbranch_scc1 .LBB1_123
	s_branch .LBB1_126
.LBB1_124:                              ;   in Loop: Header=BB1_120 Depth=2
	s_mov_b32 s28, 0
	s_branch .LBB1_127
.LBB1_125:                              ;   in Loop: Header=BB1_120 Depth=2
	s_waitcnt vmcnt(0)
	v_mov_b32_e32 v11, 0
	v_mov_b32_e32 v12, 0
.LBB1_126:                              ;   in Loop: Header=BB1_120 Depth=2
	s_mov_b64 s[2:3], s[18:19]
	s_mov_b32 s28, 0
	s_cbranch_execnz .LBB1_128
.LBB1_127:                              ;   in Loop: Header=BB1_120 Depth=2
	global_load_dwordx2 v[11:12], v2, s[18:19]
	s_add_i32 s28, s22, -8
.LBB1_128:                              ;   in Loop: Header=BB1_120 Depth=2
	s_add_u32 s24, s2, 8
	s_addc_u32 s25, s3, 0
	s_cmp_gt_u32 s28, 7
	s_cbranch_scc1 .LBB1_132
; %bb.129:                              ;   in Loop: Header=BB1_120 Depth=2
	s_cmp_eq_u32 s28, 0
	s_cbranch_scc1 .LBB1_133
; %bb.130:                              ;   in Loop: Header=BB1_120 Depth=2
	v_mov_b32_e32 v13, 0
	s_mov_b64 s[24:25], 0
	v_mov_b32_e32 v14, 0
	s_mov_b64 s[26:27], 0
.LBB1_131:                              ;   Parent Loop BB1_5 Depth=1
                                        ;     Parent Loop BB1_120 Depth=2
                                        ; =>    This Inner Loop Header: Depth=3
	s_add_u32 s30, s2, s26
	s_addc_u32 s31, s3, s27
	global_load_ubyte v1, v2, s[30:31]
	s_add_u32 s26, s26, 1
	s_addc_u32 s27, s27, 0
	s_waitcnt vmcnt(0)
	v_and_b32_e32 v1, 0xffff, v1
	v_lshlrev_b64 v[3:4], s24, v[1:2]
	s_add_u32 s24, s24, 8
	s_addc_u32 s25, s25, 0
	v_or_b32_e32 v13, v3, v13
	s_cmp_lg_u32 s28, s26
	v_or_b32_e32 v14, v4, v14
	s_cbranch_scc1 .LBB1_131
	s_branch .LBB1_134
.LBB1_132:                              ;   in Loop: Header=BB1_120 Depth=2
                                        ; implicit-def: $vgpr13_vgpr14
	s_mov_b32 s29, 0
	s_branch .LBB1_135
.LBB1_133:                              ;   in Loop: Header=BB1_120 Depth=2
	v_mov_b32_e32 v13, 0
	v_mov_b32_e32 v14, 0
.LBB1_134:                              ;   in Loop: Header=BB1_120 Depth=2
	s_mov_b64 s[24:25], s[2:3]
	s_mov_b32 s29, 0
	s_cbranch_execnz .LBB1_136
.LBB1_135:                              ;   in Loop: Header=BB1_120 Depth=2
	global_load_dwordx2 v[13:14], v2, s[2:3]
	s_add_i32 s29, s28, -8
.LBB1_136:                              ;   in Loop: Header=BB1_120 Depth=2
	s_add_u32 s2, s24, 8
	s_addc_u32 s3, s25, 0
	s_cmp_gt_u32 s29, 7
	s_cbranch_scc1 .LBB1_140
; %bb.137:                              ;   in Loop: Header=BB1_120 Depth=2
	s_cmp_eq_u32 s29, 0
	s_cbranch_scc1 .LBB1_141
; %bb.138:                              ;   in Loop: Header=BB1_120 Depth=2
	v_mov_b32_e32 v15, 0
	s_mov_b64 s[2:3], 0
	v_mov_b32_e32 v16, 0
	s_mov_b64 s[26:27], 0
.LBB1_139:                              ;   Parent Loop BB1_5 Depth=1
                                        ;     Parent Loop BB1_120 Depth=2
                                        ; =>    This Inner Loop Header: Depth=3
	s_add_u32 s30, s24, s26
	s_addc_u32 s31, s25, s27
	global_load_ubyte v1, v2, s[30:31]
	s_add_u32 s26, s26, 1
	s_addc_u32 s27, s27, 0
	s_waitcnt vmcnt(0)
	v_and_b32_e32 v1, 0xffff, v1
	v_lshlrev_b64 v[3:4], s2, v[1:2]
	s_add_u32 s2, s2, 8
	s_addc_u32 s3, s3, 0
	v_or_b32_e32 v15, v3, v15
	s_cmp_lg_u32 s29, s26
	v_or_b32_e32 v16, v4, v16
	s_cbranch_scc1 .LBB1_139
	s_branch .LBB1_142
.LBB1_140:                              ;   in Loop: Header=BB1_120 Depth=2
	s_mov_b32 s28, 0
	s_branch .LBB1_143
.LBB1_141:                              ;   in Loop: Header=BB1_120 Depth=2
	v_mov_b32_e32 v15, 0
	v_mov_b32_e32 v16, 0
.LBB1_142:                              ;   in Loop: Header=BB1_120 Depth=2
	s_mov_b64 s[2:3], s[24:25]
	s_mov_b32 s28, 0
	s_cbranch_execnz .LBB1_144
.LBB1_143:                              ;   in Loop: Header=BB1_120 Depth=2
	global_load_dwordx2 v[15:16], v2, s[24:25]
	s_add_i32 s28, s29, -8
.LBB1_144:                              ;   in Loop: Header=BB1_120 Depth=2
	s_add_u32 s24, s2, 8
	s_addc_u32 s25, s3, 0
	s_cmp_gt_u32 s28, 7
	s_cbranch_scc1 .LBB1_148
; %bb.145:                              ;   in Loop: Header=BB1_120 Depth=2
	s_cmp_eq_u32 s28, 0
	s_cbranch_scc1 .LBB1_149
; %bb.146:                              ;   in Loop: Header=BB1_120 Depth=2
	v_mov_b32_e32 v17, 0
	s_mov_b64 s[24:25], 0
	v_mov_b32_e32 v18, 0
	s_mov_b64 s[26:27], 0
.LBB1_147:                              ;   Parent Loop BB1_5 Depth=1
                                        ;     Parent Loop BB1_120 Depth=2
                                        ; =>    This Inner Loop Header: Depth=3
	s_add_u32 s30, s2, s26
	s_addc_u32 s31, s3, s27
	global_load_ubyte v1, v2, s[30:31]
	s_add_u32 s26, s26, 1
	s_addc_u32 s27, s27, 0
	s_waitcnt vmcnt(0)
	v_and_b32_e32 v1, 0xffff, v1
	v_lshlrev_b64 v[3:4], s24, v[1:2]
	s_add_u32 s24, s24, 8
	s_addc_u32 s25, s25, 0
	v_or_b32_e32 v17, v3, v17
	s_cmp_lg_u32 s28, s26
	v_or_b32_e32 v18, v4, v18
	s_cbranch_scc1 .LBB1_147
	s_branch .LBB1_150
.LBB1_148:                              ;   in Loop: Header=BB1_120 Depth=2
                                        ; implicit-def: $vgpr17_vgpr18
	s_mov_b32 s29, 0
	s_branch .LBB1_151
.LBB1_149:                              ;   in Loop: Header=BB1_120 Depth=2
	v_mov_b32_e32 v17, 0
	v_mov_b32_e32 v18, 0
.LBB1_150:                              ;   in Loop: Header=BB1_120 Depth=2
	s_mov_b64 s[24:25], s[2:3]
	s_mov_b32 s29, 0
	s_cbranch_execnz .LBB1_152
.LBB1_151:                              ;   in Loop: Header=BB1_120 Depth=2
	global_load_dwordx2 v[17:18], v2, s[2:3]
	s_add_i32 s29, s28, -8
.LBB1_152:                              ;   in Loop: Header=BB1_120 Depth=2
	s_add_u32 s2, s24, 8
	s_addc_u32 s3, s25, 0
	s_cmp_gt_u32 s29, 7
	s_cbranch_scc1 .LBB1_156
; %bb.153:                              ;   in Loop: Header=BB1_120 Depth=2
	s_cmp_eq_u32 s29, 0
	s_cbranch_scc1 .LBB1_157
; %bb.154:                              ;   in Loop: Header=BB1_120 Depth=2
	v_mov_b32_e32 v19, 0
	s_mov_b64 s[2:3], 0
	v_mov_b32_e32 v20, 0
	s_mov_b64 s[26:27], 0
.LBB1_155:                              ;   Parent Loop BB1_5 Depth=1
                                        ;     Parent Loop BB1_120 Depth=2
                                        ; =>    This Inner Loop Header: Depth=3
	s_add_u32 s30, s24, s26
	s_addc_u32 s31, s25, s27
	global_load_ubyte v1, v2, s[30:31]
	s_add_u32 s26, s26, 1
	s_addc_u32 s27, s27, 0
	s_waitcnt vmcnt(0)
	v_and_b32_e32 v1, 0xffff, v1
	v_lshlrev_b64 v[3:4], s2, v[1:2]
	s_add_u32 s2, s2, 8
	s_addc_u32 s3, s3, 0
	v_or_b32_e32 v19, v3, v19
	s_cmp_lg_u32 s29, s26
	v_or_b32_e32 v20, v4, v20
	s_cbranch_scc1 .LBB1_155
	s_branch .LBB1_158
.LBB1_156:                              ;   in Loop: Header=BB1_120 Depth=2
	s_mov_b32 s28, 0
	s_branch .LBB1_159
.LBB1_157:                              ;   in Loop: Header=BB1_120 Depth=2
	v_mov_b32_e32 v19, 0
	v_mov_b32_e32 v20, 0
.LBB1_158:                              ;   in Loop: Header=BB1_120 Depth=2
	s_mov_b64 s[2:3], s[24:25]
	s_mov_b32 s28, 0
	s_cbranch_execnz .LBB1_160
.LBB1_159:                              ;   in Loop: Header=BB1_120 Depth=2
	global_load_dwordx2 v[19:20], v2, s[24:25]
	s_add_i32 s28, s29, -8
.LBB1_160:                              ;   in Loop: Header=BB1_120 Depth=2
	s_add_u32 s24, s2, 8
	s_addc_u32 s25, s3, 0
	s_cmp_gt_u32 s28, 7
	s_cbranch_scc1 .LBB1_164
; %bb.161:                              ;   in Loop: Header=BB1_120 Depth=2
	s_cmp_eq_u32 s28, 0
	s_cbranch_scc1 .LBB1_165
; %bb.162:                              ;   in Loop: Header=BB1_120 Depth=2
	v_mov_b32_e32 v21, 0
	s_mov_b64 s[24:25], 0
	v_mov_b32_e32 v22, 0
	s_mov_b64 s[26:27], 0
.LBB1_163:                              ;   Parent Loop BB1_5 Depth=1
                                        ;     Parent Loop BB1_120 Depth=2
                                        ; =>    This Inner Loop Header: Depth=3
	s_add_u32 s30, s2, s26
	s_addc_u32 s31, s3, s27
	global_load_ubyte v1, v2, s[30:31]
	s_add_u32 s26, s26, 1
	s_addc_u32 s27, s27, 0
	s_waitcnt vmcnt(0)
	v_and_b32_e32 v1, 0xffff, v1
	v_lshlrev_b64 v[3:4], s24, v[1:2]
	s_add_u32 s24, s24, 8
	s_addc_u32 s25, s25, 0
	v_or_b32_e32 v21, v3, v21
	s_cmp_lg_u32 s28, s26
	v_or_b32_e32 v22, v4, v22
	s_cbranch_scc1 .LBB1_163
	s_branch .LBB1_166
.LBB1_164:                              ;   in Loop: Header=BB1_120 Depth=2
                                        ; implicit-def: $vgpr21_vgpr22
	s_mov_b32 s29, 0
	s_branch .LBB1_167
.LBB1_165:                              ;   in Loop: Header=BB1_120 Depth=2
	v_mov_b32_e32 v21, 0
	v_mov_b32_e32 v22, 0
.LBB1_166:                              ;   in Loop: Header=BB1_120 Depth=2
	s_mov_b64 s[24:25], s[2:3]
	s_mov_b32 s29, 0
	s_cbranch_execnz .LBB1_168
.LBB1_167:                              ;   in Loop: Header=BB1_120 Depth=2
	global_load_dwordx2 v[21:22], v2, s[2:3]
	s_add_i32 s29, s28, -8
.LBB1_168:                              ;   in Loop: Header=BB1_120 Depth=2
	s_cmp_gt_u32 s29, 7
	s_cbranch_scc1 .LBB1_172
; %bb.169:                              ;   in Loop: Header=BB1_120 Depth=2
	s_cmp_eq_u32 s29, 0
	s_cbranch_scc1 .LBB1_173
; %bb.170:                              ;   in Loop: Header=BB1_120 Depth=2
	v_mov_b32_e32 v23, 0
	s_mov_b64 s[2:3], 0
	v_mov_b32_e32 v24, 0
	s_mov_b64 s[26:27], s[24:25]
.LBB1_171:                              ;   Parent Loop BB1_5 Depth=1
                                        ;     Parent Loop BB1_120 Depth=2
                                        ; =>    This Inner Loop Header: Depth=3
	global_load_ubyte v1, v2, s[26:27]
	s_add_i32 s29, s29, -1
	s_waitcnt vmcnt(0)
	v_and_b32_e32 v1, 0xffff, v1
	v_lshlrev_b64 v[3:4], s2, v[1:2]
	s_add_u32 s2, s2, 8
	s_addc_u32 s3, s3, 0
	s_add_u32 s26, s26, 1
	s_addc_u32 s27, s27, 0
	v_or_b32_e32 v23, v3, v23
	s_cmp_lg_u32 s29, 0
	v_or_b32_e32 v24, v4, v24
	s_cbranch_scc1 .LBB1_171
	s_branch .LBB1_174
.LBB1_172:                              ;   in Loop: Header=BB1_120 Depth=2
	s_branch .LBB1_175
.LBB1_173:                              ;   in Loop: Header=BB1_120 Depth=2
	v_mov_b32_e32 v23, 0
	v_mov_b32_e32 v24, 0
.LBB1_174:                              ;   in Loop: Header=BB1_120 Depth=2
	s_cbranch_execnz .LBB1_176
.LBB1_175:                              ;   in Loop: Header=BB1_120 Depth=2
	global_load_dwordx2 v[23:24], v2, s[24:25]
.LBB1_176:                              ;   in Loop: Header=BB1_120 Depth=2
	v_readfirstlane_b32 s2, v31
	v_mov_b32_e32 v3, 0
	v_mov_b32_e32 v4, 0
	v_cmp_eq_u32_e64 s[2:3], s2, v31
	s_and_saveexec_b64 s[24:25], s[2:3]
	s_cbranch_execz .LBB1_182
; %bb.177:                              ;   in Loop: Header=BB1_120 Depth=2
	global_load_dwordx2 v[27:28], v2, s[12:13] offset:24 glc
	s_waitcnt vmcnt(0)
	buffer_wbinvl1_vol
	global_load_dwordx2 v[3:4], v2, s[12:13] offset:40
	global_load_dwordx2 v[25:26], v2, s[12:13]
	s_waitcnt vmcnt(1)
	v_and_b32_e32 v1, v3, v27
	v_and_b32_e32 v3, v4, v28
	v_mul_lo_u32 v3, v3, 24
	v_mul_hi_u32 v4, v1, 24
	v_mul_lo_u32 v1, v1, 24
	v_add_u32_e32 v4, v4, v3
	s_waitcnt vmcnt(0)
	v_add_co_u32_e32 v3, vcc, v25, v1
	v_addc_co_u32_e32 v4, vcc, v26, v4, vcc
	global_load_dwordx2 v[25:26], v[3:4], off glc
	s_waitcnt vmcnt(0)
	global_atomic_cmpswap_x2 v[3:4], v2, v[25:28], s[12:13] offset:24 glc
	s_waitcnt vmcnt(0)
	buffer_wbinvl1_vol
	v_cmp_ne_u64_e32 vcc, v[3:4], v[27:28]
	s_and_saveexec_b64 s[26:27], vcc
	s_cbranch_execz .LBB1_181
; %bb.178:                              ;   in Loop: Header=BB1_120 Depth=2
	s_mov_b64 s[28:29], 0
.LBB1_179:                              ;   Parent Loop BB1_5 Depth=1
                                        ;     Parent Loop BB1_120 Depth=2
                                        ; =>    This Inner Loop Header: Depth=3
	s_sleep 1
	global_load_dwordx2 v[25:26], v2, s[12:13] offset:40
	global_load_dwordx2 v[29:30], v2, s[12:13]
	v_mov_b32_e32 v28, v4
	v_mov_b32_e32 v27, v3
	s_waitcnt vmcnt(1)
	v_and_b32_e32 v1, v25, v27
	s_waitcnt vmcnt(0)
	v_mad_u64_u32 v[3:4], s[30:31], v1, 24, v[29:30]
	v_and_b32_e32 v25, v26, v28
	v_mov_b32_e32 v1, v4
	v_mad_u64_u32 v[25:26], s[30:31], v25, 24, v[1:2]
	v_mov_b32_e32 v4, v25
	global_load_dwordx2 v[25:26], v[3:4], off glc
	s_waitcnt vmcnt(0)
	global_atomic_cmpswap_x2 v[3:4], v2, v[25:28], s[12:13] offset:24 glc
	s_waitcnt vmcnt(0)
	buffer_wbinvl1_vol
	v_cmp_eq_u64_e32 vcc, v[3:4], v[27:28]
	s_or_b64 s[28:29], vcc, s[28:29]
	s_andn2_b64 exec, exec, s[28:29]
	s_cbranch_execnz .LBB1_179
; %bb.180:                              ;   in Loop: Header=BB1_120 Depth=2
	s_or_b64 exec, exec, s[28:29]
.LBB1_181:                              ;   in Loop: Header=BB1_120 Depth=2
	s_or_b64 exec, exec, s[26:27]
.LBB1_182:                              ;   in Loop: Header=BB1_120 Depth=2
	s_or_b64 exec, exec, s[24:25]
	global_load_dwordx2 v[29:30], v2, s[12:13] offset:40
	global_load_dwordx4 v[25:28], v2, s[12:13]
	v_readfirstlane_b32 s25, v4
	v_readfirstlane_b32 s24, v3
	s_mov_b64 s[26:27], exec
	s_waitcnt vmcnt(1)
	v_readfirstlane_b32 s28, v29
	v_readfirstlane_b32 s29, v30
	s_and_b64 s[28:29], s[28:29], s[24:25]
	s_mul_i32 s30, s29, 24
	s_mul_hi_u32 s31, s28, 24
	s_mul_i32 s37, s28, 24
	s_add_i32 s30, s31, s30
	v_mov_b32_e32 v1, s30
	s_waitcnt vmcnt(0)
	v_add_co_u32_e32 v29, vcc, s37, v25
	v_addc_co_u32_e32 v30, vcc, v26, v1, vcc
	s_and_saveexec_b64 s[30:31], s[2:3]
	s_cbranch_execz .LBB1_184
; %bb.183:                              ;   in Loop: Header=BB1_120 Depth=2
	v_mov_b32_e32 v3, s26
	v_mov_b32_e32 v4, s27
	global_store_dwordx4 v[29:30], v[3:6], off offset:8
.LBB1_184:                              ;   in Loop: Header=BB1_120 Depth=2
	s_or_b64 exec, exec, s[30:31]
	s_lshl_b64 s[26:27], s[28:29], 12
	v_cmp_gt_u64_e64 s[28:29], s[20:21], 56
	v_mov_b32_e32 v1, s27
	v_add_co_u32_e32 v27, vcc, s26, v27
	s_and_b64 s[26:27], s[28:29], exec
	s_cselect_b32 s26, 0, 2
	s_lshl_b32 s27, s22, 2
	v_addc_co_u32_e32 v28, vcc, v28, v1, vcc
	s_add_i32 s27, s27, 28
	v_and_b32_e32 v1, 0xffffff1f, v9
	s_and_b32 s27, s27, 0x1e0
	v_or_b32_e32 v1, s26, v1
	v_or_b32_e32 v9, s27, v1
	v_readfirstlane_b32 s26, v27
	v_readfirstlane_b32 s27, v28
	s_nop 4
	global_store_dwordx4 v32, v[9:12], s[26:27]
	global_store_dwordx4 v32, v[13:16], s[26:27] offset:16
	global_store_dwordx4 v32, v[17:20], s[26:27] offset:32
	;; [unrolled: 1-line block ×3, first 2 shown]
	s_and_saveexec_b64 s[26:27], s[2:3]
	s_cbranch_execz .LBB1_192
; %bb.185:                              ;   in Loop: Header=BB1_120 Depth=2
	global_load_dwordx2 v[13:14], v2, s[12:13] offset:32 glc
	global_load_dwordx2 v[3:4], v2, s[12:13] offset:40
	v_mov_b32_e32 v11, s24
	v_mov_b32_e32 v12, s25
	s_waitcnt vmcnt(0)
	v_readfirstlane_b32 s28, v3
	v_readfirstlane_b32 s29, v4
	s_and_b64 s[28:29], s[28:29], s[24:25]
	s_mul_i32 s29, s29, 24
	s_mul_hi_u32 s30, s28, 24
	s_mul_i32 s28, s28, 24
	s_add_i32 s29, s30, s29
	v_mov_b32_e32 v1, s29
	v_add_co_u32_e32 v3, vcc, s28, v25
	v_addc_co_u32_e32 v4, vcc, v26, v1, vcc
	global_store_dwordx2 v[3:4], v[13:14], off
	s_waitcnt vmcnt(0)
	global_atomic_cmpswap_x2 v[11:12], v2, v[11:14], s[12:13] offset:32 glc
	s_waitcnt vmcnt(0)
	v_cmp_ne_u64_e32 vcc, v[11:12], v[13:14]
	s_and_saveexec_b64 s[28:29], vcc
	s_cbranch_execz .LBB1_188
; %bb.186:                              ;   in Loop: Header=BB1_120 Depth=2
	s_mov_b64 s[30:31], 0
.LBB1_187:                              ;   Parent Loop BB1_5 Depth=1
                                        ;     Parent Loop BB1_120 Depth=2
                                        ; =>    This Inner Loop Header: Depth=3
	s_sleep 1
	global_store_dwordx2 v[3:4], v[11:12], off
	v_mov_b32_e32 v9, s24
	v_mov_b32_e32 v10, s25
	s_waitcnt vmcnt(0)
	global_atomic_cmpswap_x2 v[9:10], v2, v[9:12], s[12:13] offset:32 glc
	s_waitcnt vmcnt(0)
	v_cmp_eq_u64_e32 vcc, v[9:10], v[11:12]
	v_mov_b32_e32 v12, v10
	s_or_b64 s[30:31], vcc, s[30:31]
	v_mov_b32_e32 v11, v9
	s_andn2_b64 exec, exec, s[30:31]
	s_cbranch_execnz .LBB1_187
.LBB1_188:                              ;   in Loop: Header=BB1_120 Depth=2
	s_or_b64 exec, exec, s[28:29]
	global_load_dwordx2 v[3:4], v2, s[12:13] offset:16
	s_mov_b64 s[30:31], exec
	v_mbcnt_lo_u32_b32 v1, s30, 0
	v_mbcnt_hi_u32_b32 v1, s31, v1
	v_cmp_eq_u32_e32 vcc, 0, v1
	s_and_saveexec_b64 s[28:29], vcc
	s_cbranch_execz .LBB1_190
; %bb.189:                              ;   in Loop: Header=BB1_120 Depth=2
	s_bcnt1_i32_b64 s30, s[30:31]
	v_mov_b32_e32 v1, s30
	s_waitcnt vmcnt(0)
	global_atomic_add_x2 v[3:4], v[1:2], off offset:8
.LBB1_190:                              ;   in Loop: Header=BB1_120 Depth=2
	s_or_b64 exec, exec, s[28:29]
	s_waitcnt vmcnt(0)
	global_load_dwordx2 v[9:10], v[3:4], off offset:16
	s_waitcnt vmcnt(0)
	v_cmp_eq_u64_e32 vcc, 0, v[9:10]
	s_cbranch_vccnz .LBB1_192
; %bb.191:                              ;   in Loop: Header=BB1_120 Depth=2
	global_load_dword v1, v[3:4], off offset:24
	s_waitcnt vmcnt(0)
	v_readfirstlane_b32 s28, v1
	s_and_b32 m0, s28, 0xffffff
	global_store_dwordx2 v[9:10], v[1:2], off
	s_sendmsg sendmsg(MSG_INTERRUPT)
.LBB1_192:                              ;   in Loop: Header=BB1_120 Depth=2
	s_or_b64 exec, exec, s[26:27]
	v_add_co_u32_e32 v3, vcc, v27, v32
	v_addc_co_u32_e32 v4, vcc, 0, v28, vcc
	s_branch .LBB1_196
.LBB1_193:                              ;   in Loop: Header=BB1_196 Depth=3
	s_or_b64 exec, exec, s[26:27]
	v_readfirstlane_b32 s26, v1
	s_cmp_eq_u32 s26, 0
	s_cbranch_scc1 .LBB1_195
; %bb.194:                              ;   in Loop: Header=BB1_196 Depth=3
	s_sleep 1
	s_cbranch_execnz .LBB1_196
	s_branch .LBB1_198
.LBB1_195:                              ;   in Loop: Header=BB1_120 Depth=2
	s_branch .LBB1_198
.LBB1_196:                              ;   Parent Loop BB1_5 Depth=1
                                        ;     Parent Loop BB1_120 Depth=2
                                        ; =>    This Inner Loop Header: Depth=3
	v_mov_b32_e32 v1, 1
	s_and_saveexec_b64 s[26:27], s[2:3]
	s_cbranch_execz .LBB1_193
; %bb.197:                              ;   in Loop: Header=BB1_196 Depth=3
	global_load_dword v1, v[29:30], off offset:20 glc
	s_waitcnt vmcnt(0)
	buffer_wbinvl1_vol
	v_and_b32_e32 v1, 1, v1
	s_branch .LBB1_193
.LBB1_198:                              ;   in Loop: Header=BB1_120 Depth=2
	global_load_dwordx4 v[9:12], v[3:4], off
	s_and_saveexec_b64 s[26:27], s[2:3]
	s_cbranch_execz .LBB1_119
; %bb.199:                              ;   in Loop: Header=BB1_120 Depth=2
	global_load_dwordx2 v[3:4], v2, s[12:13] offset:40
	global_load_dwordx2 v[15:16], v2, s[12:13] offset:24 glc
	global_load_dwordx2 v[11:12], v2, s[12:13]
	s_waitcnt vmcnt(2)
	v_readfirstlane_b32 s28, v3
	v_readfirstlane_b32 s29, v4
	s_add_u32 s30, s28, 1
	s_addc_u32 s31, s29, 0
	s_add_u32 s2, s30, s24
	s_addc_u32 s3, s31, s25
	s_cmp_eq_u64 s[2:3], 0
	s_cselect_b32 s3, s31, s3
	s_cselect_b32 s2, s30, s2
	s_and_b64 s[24:25], s[2:3], s[28:29]
	s_mul_i32 s25, s25, 24
	s_mul_hi_u32 s28, s24, 24
	s_mul_i32 s24, s24, 24
	s_add_i32 s25, s28, s25
	v_mov_b32_e32 v1, s25
	s_waitcnt vmcnt(0)
	v_add_co_u32_e32 v3, vcc, s24, v11
	v_addc_co_u32_e32 v4, vcc, v12, v1, vcc
	v_mov_b32_e32 v13, s2
	global_store_dwordx2 v[3:4], v[15:16], off
	v_mov_b32_e32 v14, s3
	s_waitcnt vmcnt(0)
	global_atomic_cmpswap_x2 v[13:14], v2, v[13:16], s[12:13] offset:24 glc
	s_waitcnt vmcnt(0)
	v_cmp_ne_u64_e32 vcc, v[13:14], v[15:16]
	s_and_b64 exec, exec, vcc
	s_cbranch_execz .LBB1_119
; %bb.200:                              ;   in Loop: Header=BB1_120 Depth=2
	s_mov_b64 s[24:25], 0
.LBB1_201:                              ;   Parent Loop BB1_5 Depth=1
                                        ;     Parent Loop BB1_120 Depth=2
                                        ; =>    This Inner Loop Header: Depth=3
	s_sleep 1
	global_store_dwordx2 v[3:4], v[13:14], off
	v_mov_b32_e32 v11, s2
	v_mov_b32_e32 v12, s3
	s_waitcnt vmcnt(0)
	global_atomic_cmpswap_x2 v[11:12], v2, v[11:14], s[12:13] offset:24 glc
	s_waitcnt vmcnt(0)
	v_cmp_eq_u64_e32 vcc, v[11:12], v[13:14]
	v_mov_b32_e32 v14, v12
	s_or_b64 s[24:25], vcc, s[24:25]
	v_mov_b32_e32 v13, v11
	s_andn2_b64 exec, exec, s[24:25]
	s_cbranch_execnz .LBB1_201
	s_branch .LBB1_119
.LBB1_202:                              ;   in Loop: Header=BB1_5 Depth=1
	s_branch .LBB1_4
.LBB1_203:                              ;   in Loop: Header=BB1_5 Depth=1
                                        ; implicit-def: $vgpr7_vgpr8
	s_cbranch_execz .LBB1_117
; %bb.204:                              ;   in Loop: Header=BB1_5 Depth=1
	v_readfirstlane_b32 s2, v31
	v_mov_b32_e32 v3, 0
	v_mov_b32_e32 v4, 0
	v_cmp_eq_u32_e64 s[2:3], s2, v31
	s_and_saveexec_b64 s[18:19], s[2:3]
	s_cbranch_execz .LBB1_210
; %bb.205:                              ;   in Loop: Header=BB1_5 Depth=1
	global_load_dwordx2 v[9:10], v2, s[12:13] offset:24 glc
	s_waitcnt vmcnt(0)
	buffer_wbinvl1_vol
	global_load_dwordx2 v[3:4], v2, s[12:13] offset:40
	global_load_dwordx2 v[7:8], v2, s[12:13]
	s_waitcnt vmcnt(1)
	v_and_b32_e32 v1, v3, v9
	v_and_b32_e32 v3, v4, v10
	v_mul_lo_u32 v3, v3, 24
	v_mul_hi_u32 v4, v1, 24
	v_mul_lo_u32 v1, v1, 24
	v_add_u32_e32 v4, v4, v3
	s_waitcnt vmcnt(0)
	v_add_co_u32_e32 v3, vcc, v7, v1
	v_addc_co_u32_e32 v4, vcc, v8, v4, vcc
	global_load_dwordx2 v[7:8], v[3:4], off glc
	s_waitcnt vmcnt(0)
	global_atomic_cmpswap_x2 v[3:4], v2, v[7:10], s[12:13] offset:24 glc
	s_waitcnt vmcnt(0)
	buffer_wbinvl1_vol
	v_cmp_ne_u64_e32 vcc, v[3:4], v[9:10]
	s_and_saveexec_b64 s[20:21], vcc
	s_cbranch_execz .LBB1_209
; %bb.206:                              ;   in Loop: Header=BB1_5 Depth=1
	s_mov_b64 s[22:23], 0
.LBB1_207:                              ;   Parent Loop BB1_5 Depth=1
                                        ; =>  This Inner Loop Header: Depth=2
	s_sleep 1
	global_load_dwordx2 v[7:8], v2, s[12:13] offset:40
	global_load_dwordx2 v[13:14], v2, s[12:13]
	v_mov_b32_e32 v10, v4
	v_mov_b32_e32 v9, v3
	s_waitcnt vmcnt(1)
	v_and_b32_e32 v1, v7, v9
	s_waitcnt vmcnt(0)
	v_mad_u64_u32 v[3:4], s[24:25], v1, 24, v[13:14]
	v_and_b32_e32 v7, v8, v10
	v_mov_b32_e32 v1, v4
	v_mad_u64_u32 v[7:8], s[24:25], v7, 24, v[1:2]
	v_mov_b32_e32 v4, v7
	global_load_dwordx2 v[7:8], v[3:4], off glc
	s_waitcnt vmcnt(0)
	global_atomic_cmpswap_x2 v[3:4], v2, v[7:10], s[12:13] offset:24 glc
	s_waitcnt vmcnt(0)
	buffer_wbinvl1_vol
	v_cmp_eq_u64_e32 vcc, v[3:4], v[9:10]
	s_or_b64 s[22:23], vcc, s[22:23]
	s_andn2_b64 exec, exec, s[22:23]
	s_cbranch_execnz .LBB1_207
; %bb.208:                              ;   in Loop: Header=BB1_5 Depth=1
	s_or_b64 exec, exec, s[22:23]
.LBB1_209:                              ;   in Loop: Header=BB1_5 Depth=1
	s_or_b64 exec, exec, s[20:21]
.LBB1_210:                              ;   in Loop: Header=BB1_5 Depth=1
	s_or_b64 exec, exec, s[18:19]
	global_load_dwordx2 v[13:14], v2, s[12:13] offset:40
	global_load_dwordx4 v[7:10], v2, s[12:13]
	v_readfirstlane_b32 s19, v4
	v_readfirstlane_b32 s18, v3
	s_mov_b64 s[20:21], exec
	s_waitcnt vmcnt(1)
	v_readfirstlane_b32 s22, v13
	v_readfirstlane_b32 s23, v14
	s_and_b64 s[22:23], s[22:23], s[18:19]
	s_mul_i32 s24, s23, 24
	s_mul_hi_u32 s25, s22, 24
	s_mul_i32 s26, s22, 24
	s_add_i32 s24, s25, s24
	v_mov_b32_e32 v1, s24
	s_waitcnt vmcnt(0)
	v_add_co_u32_e32 v15, vcc, s26, v7
	v_addc_co_u32_e32 v16, vcc, v8, v1, vcc
	s_and_saveexec_b64 s[24:25], s[2:3]
	s_cbranch_execz .LBB1_212
; %bb.211:                              ;   in Loop: Header=BB1_5 Depth=1
	v_mov_b32_e32 v3, s20
	v_mov_b32_e32 v4, s21
	global_store_dwordx4 v[15:16], v[3:6], off offset:8
.LBB1_212:                              ;   in Loop: Header=BB1_5 Depth=1
	s_or_b64 exec, exec, s[24:25]
	s_lshl_b64 s[20:21], s[22:23], 12
	v_mov_b32_e32 v1, s21
	v_add_co_u32_e32 v17, vcc, s20, v9
	v_addc_co_u32_e32 v18, vcc, v10, v1, vcc
	v_and_or_b32 v11, v11, s34, 32
	v_mov_b32_e32 v13, v2
	v_mov_b32_e32 v14, v2
	v_readfirstlane_b32 s20, v17
	v_readfirstlane_b32 s21, v18
	s_nop 4
	global_store_dwordx4 v32, v[11:14], s[20:21]
	s_nop 0
	v_mov_b32_e32 v12, s7
	v_mov_b32_e32 v11, s6
	;; [unrolled: 1-line block ×4, first 2 shown]
	global_store_dwordx4 v32, v[9:12], s[20:21] offset:16
	global_store_dwordx4 v32, v[9:12], s[20:21] offset:32
	;; [unrolled: 1-line block ×3, first 2 shown]
	s_and_saveexec_b64 s[20:21], s[2:3]
	s_cbranch_execz .LBB1_220
; %bb.213:                              ;   in Loop: Header=BB1_5 Depth=1
	global_load_dwordx2 v[11:12], v2, s[12:13] offset:32 glc
	global_load_dwordx2 v[3:4], v2, s[12:13] offset:40
	v_mov_b32_e32 v9, s18
	v_mov_b32_e32 v10, s19
	s_waitcnt vmcnt(0)
	v_readfirstlane_b32 s22, v3
	v_readfirstlane_b32 s23, v4
	s_and_b64 s[22:23], s[22:23], s[18:19]
	s_mul_i32 s23, s23, 24
	s_mul_hi_u32 s24, s22, 24
	s_mul_i32 s22, s22, 24
	s_add_i32 s23, s24, s23
	v_mov_b32_e32 v1, s23
	v_add_co_u32_e32 v3, vcc, s22, v7
	v_addc_co_u32_e32 v4, vcc, v8, v1, vcc
	global_store_dwordx2 v[3:4], v[11:12], off
	s_waitcnt vmcnt(0)
	global_atomic_cmpswap_x2 v[9:10], v2, v[9:12], s[12:13] offset:32 glc
	s_waitcnt vmcnt(0)
	v_cmp_ne_u64_e32 vcc, v[9:10], v[11:12]
	s_and_saveexec_b64 s[22:23], vcc
	s_cbranch_execz .LBB1_216
; %bb.214:                              ;   in Loop: Header=BB1_5 Depth=1
	s_mov_b64 s[24:25], 0
.LBB1_215:                              ;   Parent Loop BB1_5 Depth=1
                                        ; =>  This Inner Loop Header: Depth=2
	s_sleep 1
	global_store_dwordx2 v[3:4], v[9:10], off
	v_mov_b32_e32 v7, s18
	v_mov_b32_e32 v8, s19
	s_waitcnt vmcnt(0)
	global_atomic_cmpswap_x2 v[7:8], v2, v[7:10], s[12:13] offset:32 glc
	s_waitcnt vmcnt(0)
	v_cmp_eq_u64_e32 vcc, v[7:8], v[9:10]
	v_mov_b32_e32 v10, v8
	s_or_b64 s[24:25], vcc, s[24:25]
	v_mov_b32_e32 v9, v7
	s_andn2_b64 exec, exec, s[24:25]
	s_cbranch_execnz .LBB1_215
.LBB1_216:                              ;   in Loop: Header=BB1_5 Depth=1
	s_or_b64 exec, exec, s[22:23]
	global_load_dwordx2 v[3:4], v2, s[12:13] offset:16
	s_mov_b64 s[24:25], exec
	v_mbcnt_lo_u32_b32 v1, s24, 0
	v_mbcnt_hi_u32_b32 v1, s25, v1
	v_cmp_eq_u32_e32 vcc, 0, v1
	s_and_saveexec_b64 s[22:23], vcc
	s_cbranch_execz .LBB1_218
; %bb.217:                              ;   in Loop: Header=BB1_5 Depth=1
	s_bcnt1_i32_b64 s24, s[24:25]
	v_mov_b32_e32 v1, s24
	s_waitcnt vmcnt(0)
	global_atomic_add_x2 v[3:4], v[1:2], off offset:8
.LBB1_218:                              ;   in Loop: Header=BB1_5 Depth=1
	s_or_b64 exec, exec, s[22:23]
	s_waitcnt vmcnt(0)
	global_load_dwordx2 v[7:8], v[3:4], off offset:16
	s_waitcnt vmcnt(0)
	v_cmp_eq_u64_e32 vcc, 0, v[7:8]
	s_cbranch_vccnz .LBB1_220
; %bb.219:                              ;   in Loop: Header=BB1_5 Depth=1
	global_load_dword v1, v[3:4], off offset:24
	s_waitcnt vmcnt(0)
	v_readfirstlane_b32 s22, v1
	s_and_b32 m0, s22, 0xffffff
	global_store_dwordx2 v[7:8], v[1:2], off
	s_sendmsg sendmsg(MSG_INTERRUPT)
.LBB1_220:                              ;   in Loop: Header=BB1_5 Depth=1
	s_or_b64 exec, exec, s[20:21]
	v_add_co_u32_e32 v3, vcc, v17, v32
	v_addc_co_u32_e32 v4, vcc, 0, v18, vcc
	s_branch .LBB1_224
.LBB1_221:                              ;   in Loop: Header=BB1_224 Depth=2
	s_or_b64 exec, exec, s[20:21]
	v_readfirstlane_b32 s20, v1
	s_cmp_eq_u32 s20, 0
	s_cbranch_scc1 .LBB1_223
; %bb.222:                              ;   in Loop: Header=BB1_224 Depth=2
	s_sleep 1
	s_cbranch_execnz .LBB1_224
	s_branch .LBB1_226
.LBB1_223:                              ;   in Loop: Header=BB1_5 Depth=1
	s_branch .LBB1_226
.LBB1_224:                              ;   Parent Loop BB1_5 Depth=1
                                        ; =>  This Inner Loop Header: Depth=2
	v_mov_b32_e32 v1, 1
	s_and_saveexec_b64 s[20:21], s[2:3]
	s_cbranch_execz .LBB1_221
; %bb.225:                              ;   in Loop: Header=BB1_224 Depth=2
	global_load_dword v1, v[15:16], off offset:20 glc
	s_waitcnt vmcnt(0)
	buffer_wbinvl1_vol
	v_and_b32_e32 v1, 1, v1
	s_branch .LBB1_221
.LBB1_226:                              ;   in Loop: Header=BB1_5 Depth=1
	global_load_dwordx2 v[7:8], v[3:4], off
	s_and_saveexec_b64 s[20:21], s[2:3]
	s_cbranch_execz .LBB1_230
; %bb.227:                              ;   in Loop: Header=BB1_5 Depth=1
	global_load_dwordx2 v[3:4], v2, s[12:13] offset:40
	global_load_dwordx2 v[13:14], v2, s[12:13] offset:24 glc
	global_load_dwordx2 v[9:10], v2, s[12:13]
	s_waitcnt vmcnt(2)
	v_readfirstlane_b32 s22, v3
	v_readfirstlane_b32 s23, v4
	s_add_u32 s24, s22, 1
	s_addc_u32 s25, s23, 0
	s_add_u32 s2, s24, s18
	s_addc_u32 s3, s25, s19
	s_cmp_eq_u64 s[2:3], 0
	s_cselect_b32 s3, s25, s3
	s_cselect_b32 s2, s24, s2
	s_and_b64 s[18:19], s[2:3], s[22:23]
	s_mul_i32 s19, s19, 24
	s_mul_hi_u32 s22, s18, 24
	s_mul_i32 s18, s18, 24
	s_add_i32 s19, s22, s19
	v_mov_b32_e32 v1, s19
	s_waitcnt vmcnt(0)
	v_add_co_u32_e32 v3, vcc, s18, v9
	v_addc_co_u32_e32 v4, vcc, v10, v1, vcc
	v_mov_b32_e32 v11, s2
	global_store_dwordx2 v[3:4], v[13:14], off
	v_mov_b32_e32 v12, s3
	s_waitcnt vmcnt(0)
	global_atomic_cmpswap_x2 v[11:12], v2, v[11:14], s[12:13] offset:24 glc
	s_waitcnt vmcnt(0)
	v_cmp_ne_u64_e32 vcc, v[11:12], v[13:14]
	s_and_b64 exec, exec, vcc
	s_cbranch_execz .LBB1_230
; %bb.228:                              ;   in Loop: Header=BB1_5 Depth=1
	s_mov_b64 s[18:19], 0
.LBB1_229:                              ;   Parent Loop BB1_5 Depth=1
                                        ; =>  This Inner Loop Header: Depth=2
	s_sleep 1
	global_store_dwordx2 v[3:4], v[11:12], off
	v_mov_b32_e32 v9, s2
	v_mov_b32_e32 v10, s3
	s_waitcnt vmcnt(0)
	global_atomic_cmpswap_x2 v[9:10], v2, v[9:12], s[12:13] offset:24 glc
	s_waitcnt vmcnt(0)
	v_cmp_eq_u64_e32 vcc, v[9:10], v[11:12]
	v_mov_b32_e32 v12, v10
	s_or_b64 s[18:19], vcc, s[18:19]
	v_mov_b32_e32 v11, v9
	s_andn2_b64 exec, exec, s[18:19]
	s_cbranch_execnz .LBB1_229
.LBB1_230:                              ;   in Loop: Header=BB1_5 Depth=1
	s_or_b64 exec, exec, s[20:21]
	s_and_b64 vcc, exec, s[16:17]
	s_cbranch_vccnz .LBB1_118
.LBB1_231:                              ;   in Loop: Header=BB1_5 Depth=1
	s_cbranch_execz .LBB1_4
; %bb.232:                              ;   in Loop: Header=BB1_5 Depth=1
	v_readfirstlane_b32 s2, v31
	v_mov_b32_e32 v3, 0
	v_mov_b32_e32 v4, 0
	v_cmp_eq_u32_e64 s[2:3], s2, v31
	s_and_saveexec_b64 s[18:19], s[2:3]
	s_cbranch_execz .LBB1_238
; %bb.233:                              ;   in Loop: Header=BB1_5 Depth=1
	global_load_dwordx2 v[11:12], v2, s[12:13] offset:24 glc
	s_waitcnt vmcnt(0)
	buffer_wbinvl1_vol
	global_load_dwordx2 v[3:4], v2, s[12:13] offset:40
	global_load_dwordx2 v[9:10], v2, s[12:13]
	s_waitcnt vmcnt(1)
	v_and_b32_e32 v1, v3, v11
	v_and_b32_e32 v3, v4, v12
	v_mul_lo_u32 v3, v3, 24
	v_mul_hi_u32 v4, v1, 24
	v_mul_lo_u32 v1, v1, 24
	v_add_u32_e32 v4, v4, v3
	s_waitcnt vmcnt(0)
	v_add_co_u32_e32 v3, vcc, v9, v1
	v_addc_co_u32_e32 v4, vcc, v10, v4, vcc
	global_load_dwordx2 v[9:10], v[3:4], off glc
	s_waitcnt vmcnt(0)
	global_atomic_cmpswap_x2 v[3:4], v2, v[9:12], s[12:13] offset:24 glc
	s_waitcnt vmcnt(0)
	buffer_wbinvl1_vol
	v_cmp_ne_u64_e32 vcc, v[3:4], v[11:12]
	s_and_saveexec_b64 s[20:21], vcc
	s_cbranch_execz .LBB1_237
; %bb.234:                              ;   in Loop: Header=BB1_5 Depth=1
	s_mov_b64 s[22:23], 0
.LBB1_235:                              ;   Parent Loop BB1_5 Depth=1
                                        ; =>  This Inner Loop Header: Depth=2
	s_sleep 1
	global_load_dwordx2 v[9:10], v2, s[12:13] offset:40
	global_load_dwordx2 v[13:14], v2, s[12:13]
	v_mov_b32_e32 v12, v4
	v_mov_b32_e32 v11, v3
	s_waitcnt vmcnt(1)
	v_and_b32_e32 v1, v9, v11
	s_waitcnt vmcnt(0)
	v_mad_u64_u32 v[3:4], s[24:25], v1, 24, v[13:14]
	v_and_b32_e32 v9, v10, v12
	v_mov_b32_e32 v1, v4
	v_mad_u64_u32 v[9:10], s[24:25], v9, 24, v[1:2]
	v_mov_b32_e32 v4, v9
	global_load_dwordx2 v[9:10], v[3:4], off glc
	s_waitcnt vmcnt(0)
	global_atomic_cmpswap_x2 v[3:4], v2, v[9:12], s[12:13] offset:24 glc
	s_waitcnt vmcnt(0)
	buffer_wbinvl1_vol
	v_cmp_eq_u64_e32 vcc, v[3:4], v[11:12]
	s_or_b64 s[22:23], vcc, s[22:23]
	s_andn2_b64 exec, exec, s[22:23]
	s_cbranch_execnz .LBB1_235
; %bb.236:                              ;   in Loop: Header=BB1_5 Depth=1
	s_or_b64 exec, exec, s[22:23]
.LBB1_237:                              ;   in Loop: Header=BB1_5 Depth=1
	s_or_b64 exec, exec, s[20:21]
.LBB1_238:                              ;   in Loop: Header=BB1_5 Depth=1
	s_or_b64 exec, exec, s[18:19]
	global_load_dwordx2 v[9:10], v2, s[12:13] offset:40
	global_load_dwordx4 v[11:14], v2, s[12:13]
	v_readfirstlane_b32 s19, v4
	v_readfirstlane_b32 s18, v3
	s_mov_b64 s[20:21], exec
	s_waitcnt vmcnt(1)
	v_readfirstlane_b32 s22, v9
	v_readfirstlane_b32 s23, v10
	s_and_b64 s[22:23], s[22:23], s[18:19]
	s_mul_i32 s24, s23, 24
	s_mul_hi_u32 s25, s22, 24
	s_mul_i32 s26, s22, 24
	s_add_i32 s24, s25, s24
	v_mov_b32_e32 v1, s24
	s_waitcnt vmcnt(0)
	v_add_co_u32_e32 v15, vcc, s26, v11
	v_addc_co_u32_e32 v16, vcc, v12, v1, vcc
	s_and_saveexec_b64 s[24:25], s[2:3]
	s_cbranch_execz .LBB1_240
; %bb.239:                              ;   in Loop: Header=BB1_5 Depth=1
	v_mov_b32_e32 v3, s20
	v_mov_b32_e32 v4, s21
	global_store_dwordx4 v[15:16], v[3:6], off offset:8
.LBB1_240:                              ;   in Loop: Header=BB1_5 Depth=1
	s_or_b64 exec, exec, s[24:25]
	s_lshl_b64 s[20:21], s[22:23], 12
	v_mov_b32_e32 v1, s21
	v_add_co_u32_e32 v3, vcc, s20, v13
	v_addc_co_u32_e32 v1, vcc, v14, v1, vcc
	v_and_or_b32 v7, v7, s35, 34
	v_mov_b32_e32 v9, v2
	v_mov_b32_e32 v10, v2
	v_readfirstlane_b32 s20, v3
	v_readfirstlane_b32 s21, v1
	s_nop 4
	global_store_dwordx4 v32, v[7:10], s[20:21]
	s_nop 0
	v_mov_b32_e32 v10, s7
	v_mov_b32_e32 v9, s6
	;; [unrolled: 1-line block ×4, first 2 shown]
	global_store_dwordx4 v32, v[7:10], s[20:21] offset:16
	global_store_dwordx4 v32, v[7:10], s[20:21] offset:32
	;; [unrolled: 1-line block ×3, first 2 shown]
	s_and_saveexec_b64 s[20:21], s[2:3]
	s_cbranch_execz .LBB1_248
; %bb.241:                              ;   in Loop: Header=BB1_5 Depth=1
	global_load_dwordx2 v[19:20], v2, s[12:13] offset:32 glc
	global_load_dwordx2 v[3:4], v2, s[12:13] offset:40
	v_mov_b32_e32 v17, s18
	v_mov_b32_e32 v18, s19
	s_waitcnt vmcnt(0)
	v_readfirstlane_b32 s22, v3
	v_readfirstlane_b32 s23, v4
	s_and_b64 s[22:23], s[22:23], s[18:19]
	s_mul_i32 s23, s23, 24
	s_mul_hi_u32 s24, s22, 24
	s_mul_i32 s22, s22, 24
	s_add_i32 s23, s24, s23
	v_mov_b32_e32 v1, s23
	v_add_co_u32_e32 v3, vcc, s22, v11
	v_addc_co_u32_e32 v4, vcc, v12, v1, vcc
	global_store_dwordx2 v[3:4], v[19:20], off
	s_waitcnt vmcnt(0)
	global_atomic_cmpswap_x2 v[9:10], v2, v[17:20], s[12:13] offset:32 glc
	s_waitcnt vmcnt(0)
	v_cmp_ne_u64_e32 vcc, v[9:10], v[19:20]
	s_and_saveexec_b64 s[22:23], vcc
	s_cbranch_execz .LBB1_244
; %bb.242:                              ;   in Loop: Header=BB1_5 Depth=1
	s_mov_b64 s[24:25], 0
.LBB1_243:                              ;   Parent Loop BB1_5 Depth=1
                                        ; =>  This Inner Loop Header: Depth=2
	s_sleep 1
	global_store_dwordx2 v[3:4], v[9:10], off
	v_mov_b32_e32 v7, s18
	v_mov_b32_e32 v8, s19
	s_waitcnt vmcnt(0)
	global_atomic_cmpswap_x2 v[7:8], v2, v[7:10], s[12:13] offset:32 glc
	s_waitcnt vmcnt(0)
	v_cmp_eq_u64_e32 vcc, v[7:8], v[9:10]
	v_mov_b32_e32 v10, v8
	s_or_b64 s[24:25], vcc, s[24:25]
	v_mov_b32_e32 v9, v7
	s_andn2_b64 exec, exec, s[24:25]
	s_cbranch_execnz .LBB1_243
.LBB1_244:                              ;   in Loop: Header=BB1_5 Depth=1
	s_or_b64 exec, exec, s[22:23]
	global_load_dwordx2 v[3:4], v2, s[12:13] offset:16
	s_mov_b64 s[24:25], exec
	v_mbcnt_lo_u32_b32 v1, s24, 0
	v_mbcnt_hi_u32_b32 v1, s25, v1
	v_cmp_eq_u32_e32 vcc, 0, v1
	s_and_saveexec_b64 s[22:23], vcc
	s_cbranch_execz .LBB1_246
; %bb.245:                              ;   in Loop: Header=BB1_5 Depth=1
	s_bcnt1_i32_b64 s24, s[24:25]
	v_mov_b32_e32 v1, s24
	s_waitcnt vmcnt(0)
	global_atomic_add_x2 v[3:4], v[1:2], off offset:8
.LBB1_246:                              ;   in Loop: Header=BB1_5 Depth=1
	s_or_b64 exec, exec, s[22:23]
	s_waitcnt vmcnt(0)
	global_load_dwordx2 v[7:8], v[3:4], off offset:16
	s_waitcnt vmcnt(0)
	v_cmp_eq_u64_e32 vcc, 0, v[7:8]
	s_cbranch_vccnz .LBB1_248
; %bb.247:                              ;   in Loop: Header=BB1_5 Depth=1
	global_load_dword v1, v[3:4], off offset:24
	s_waitcnt vmcnt(0)
	v_readfirstlane_b32 s22, v1
	s_and_b32 m0, s22, 0xffffff
	global_store_dwordx2 v[7:8], v[1:2], off
	s_sendmsg sendmsg(MSG_INTERRUPT)
.LBB1_248:                              ;   in Loop: Header=BB1_5 Depth=1
	s_or_b64 exec, exec, s[20:21]
	s_branch .LBB1_252
.LBB1_249:                              ;   in Loop: Header=BB1_252 Depth=2
	s_or_b64 exec, exec, s[20:21]
	v_readfirstlane_b32 s20, v1
	s_cmp_eq_u32 s20, 0
	s_cbranch_scc1 .LBB1_251
; %bb.250:                              ;   in Loop: Header=BB1_252 Depth=2
	s_sleep 1
	s_cbranch_execnz .LBB1_252
	s_branch .LBB1_254
.LBB1_251:                              ;   in Loop: Header=BB1_5 Depth=1
	s_branch .LBB1_254
.LBB1_252:                              ;   Parent Loop BB1_5 Depth=1
                                        ; =>  This Inner Loop Header: Depth=2
	v_mov_b32_e32 v1, 1
	s_and_saveexec_b64 s[20:21], s[2:3]
	s_cbranch_execz .LBB1_249
; %bb.253:                              ;   in Loop: Header=BB1_252 Depth=2
	global_load_dword v1, v[15:16], off offset:20 glc
	s_waitcnt vmcnt(0)
	buffer_wbinvl1_vol
	v_and_b32_e32 v1, 1, v1
	s_branch .LBB1_249
.LBB1_254:                              ;   in Loop: Header=BB1_5 Depth=1
	s_and_saveexec_b64 s[20:21], s[2:3]
	s_cbranch_execz .LBB1_3
; %bb.255:                              ;   in Loop: Header=BB1_5 Depth=1
	global_load_dwordx2 v[3:4], v2, s[12:13] offset:40
	global_load_dwordx2 v[11:12], v2, s[12:13] offset:24 glc
	global_load_dwordx2 v[7:8], v2, s[12:13]
	s_waitcnt vmcnt(2)
	v_readfirstlane_b32 s22, v3
	v_readfirstlane_b32 s23, v4
	s_add_u32 s24, s22, 1
	s_addc_u32 s25, s23, 0
	s_add_u32 s2, s24, s18
	s_addc_u32 s3, s25, s19
	s_cmp_eq_u64 s[2:3], 0
	s_cselect_b32 s3, s25, s3
	s_cselect_b32 s2, s24, s2
	s_and_b64 s[18:19], s[2:3], s[22:23]
	s_mul_i32 s19, s19, 24
	s_mul_hi_u32 s22, s18, 24
	s_mul_i32 s18, s18, 24
	s_add_i32 s19, s22, s19
	v_mov_b32_e32 v1, s19
	s_waitcnt vmcnt(0)
	v_add_co_u32_e32 v3, vcc, s18, v7
	v_addc_co_u32_e32 v4, vcc, v8, v1, vcc
	v_mov_b32_e32 v9, s2
	global_store_dwordx2 v[3:4], v[11:12], off
	v_mov_b32_e32 v10, s3
	s_waitcnt vmcnt(0)
	global_atomic_cmpswap_x2 v[9:10], v2, v[9:12], s[12:13] offset:24 glc
	s_waitcnt vmcnt(0)
	v_cmp_ne_u64_e32 vcc, v[9:10], v[11:12]
	s_and_b64 exec, exec, vcc
	s_cbranch_execz .LBB1_3
; %bb.256:                              ;   in Loop: Header=BB1_5 Depth=1
	s_mov_b64 s[18:19], 0
.LBB1_257:                              ;   Parent Loop BB1_5 Depth=1
                                        ; =>  This Inner Loop Header: Depth=2
	s_sleep 1
	global_store_dwordx2 v[3:4], v[9:10], off
	v_mov_b32_e32 v7, s2
	v_mov_b32_e32 v8, s3
	s_waitcnt vmcnt(0)
	global_atomic_cmpswap_x2 v[7:8], v2, v[7:10], s[12:13] offset:24 glc
	s_waitcnt vmcnt(0)
	v_cmp_eq_u64_e32 vcc, v[7:8], v[9:10]
	v_mov_b32_e32 v10, v8
	s_or_b64 s[18:19], vcc, s[18:19]
	v_mov_b32_e32 v9, v7
	s_andn2_b64 exec, exec, s[18:19]
	s_cbranch_execnz .LBB1_257
	s_branch .LBB1_3
.LBB1_258:
	s_andn2_saveexec_b64 s[2:3], s[10:11]
	s_cbranch_execz .LBB1_516
; %bb.259:
	s_and_b64 vcc, exec, s[0:1]
	s_cbranch_vccnz .LBB1_516
; %bb.260:
	s_load_dwordx2 s[2:3], s[8:9], 0x50
	s_getpc_b64 s[0:1]
	s_add_u32 s0, s0, .str@rel32@lo+4
	s_addc_u32 s1, s1, .str@rel32@hi+12
	s_cmp_lg_u64 s[0:1], 0
	s_cselect_b64 s[8:9], -1, 0
	s_getpc_b64 s[0:1]
	s_add_u32 s0, s0, .str.2@rel32@lo+4
	s_addc_u32 s1, s1, .str.2@rel32@hi+12
	s_mov_b32 s4, 0
	v_mbcnt_lo_u32_b32 v0, -1, 0
	s_cmp_lg_u64 s[0:1], 0
	v_mbcnt_hi_u32_b32 v31, -1, v0
	v_mov_b32_e32 v2, 0
	s_cselect_b64 s[10:11], -1, 0
	s_mov_b32 s5, s4
	s_mov_b32 s6, s4
	;; [unrolled: 1-line block ×3, first 2 shown]
	s_movk_i32 s26, 0xff1f
	s_movk_i32 s27, 0xff1d
	v_mov_b32_e32 v5, 2
	v_mov_b32_e32 v6, 1
	;; [unrolled: 1-line block ×3, first 2 shown]
	s_mov_b32 s28, s4
	s_branch .LBB1_263
.LBB1_261:                              ;   in Loop: Header=BB1_263 Depth=1
	s_or_b64 exec, exec, s[14:15]
.LBB1_262:                              ;   in Loop: Header=BB1_263 Depth=1
	s_add_i32 s28, s28, 1
	s_cmp_eq_u32 s28, s33
	s_cbranch_scc1 .LBB1_516
.LBB1_263:                              ; =>This Loop Header: Depth=1
                                        ;     Child Loop BB1_266 Depth 2
                                        ;     Child Loop BB1_274 Depth 2
	;; [unrolled: 1-line block ×9, first 2 shown]
                                        ;       Child Loop BB1_295 Depth 3
                                        ;       Child Loop BB1_303 Depth 3
	;; [unrolled: 1-line block ×11, first 2 shown]
                                        ;     Child Loop BB1_493 Depth 2
                                        ;     Child Loop BB1_501 Depth 2
	;; [unrolled: 1-line block ×5, first 2 shown]
                                        ;       Child Loop BB1_381 Depth 3
                                        ;       Child Loop BB1_389 Depth 3
	;; [unrolled: 1-line block ×11, first 2 shown]
	v_readfirstlane_b32 s0, v31
	v_mov_b32_e32 v3, 0
	v_mov_b32_e32 v4, 0
	v_cmp_eq_u32_e64 s[0:1], s0, v31
	s_and_saveexec_b64 s[12:13], s[0:1]
	s_cbranch_execz .LBB1_269
; %bb.264:                              ;   in Loop: Header=BB1_263 Depth=1
	s_waitcnt lgkmcnt(0)
	global_load_dwordx2 v[9:10], v2, s[2:3] offset:24 glc
	s_waitcnt vmcnt(0)
	buffer_wbinvl1_vol
	global_load_dwordx2 v[3:4], v2, s[2:3] offset:40
	global_load_dwordx2 v[7:8], v2, s[2:3]
	s_waitcnt vmcnt(1)
	v_and_b32_e32 v1, v3, v9
	v_and_b32_e32 v3, v4, v10
	v_mul_lo_u32 v3, v3, 24
	v_mul_hi_u32 v4, v1, 24
	v_mul_lo_u32 v1, v1, 24
	v_add_u32_e32 v4, v4, v3
	s_waitcnt vmcnt(0)
	v_add_co_u32_e32 v3, vcc, v7, v1
	v_addc_co_u32_e32 v4, vcc, v8, v4, vcc
	global_load_dwordx2 v[7:8], v[3:4], off glc
	s_waitcnt vmcnt(0)
	global_atomic_cmpswap_x2 v[3:4], v2, v[7:10], s[2:3] offset:24 glc
	s_waitcnt vmcnt(0)
	buffer_wbinvl1_vol
	v_cmp_ne_u64_e32 vcc, v[3:4], v[9:10]
	s_and_saveexec_b64 s[14:15], vcc
	s_cbranch_execz .LBB1_268
; %bb.265:                              ;   in Loop: Header=BB1_263 Depth=1
	s_mov_b64 s[16:17], 0
.LBB1_266:                              ;   Parent Loop BB1_263 Depth=1
                                        ; =>  This Inner Loop Header: Depth=2
	s_sleep 1
	global_load_dwordx2 v[7:8], v2, s[2:3] offset:40
	global_load_dwordx2 v[11:12], v2, s[2:3]
	v_mov_b32_e32 v10, v4
	v_mov_b32_e32 v9, v3
	s_waitcnt vmcnt(1)
	v_and_b32_e32 v1, v7, v9
	s_waitcnt vmcnt(0)
	v_mad_u64_u32 v[3:4], s[18:19], v1, 24, v[11:12]
	v_and_b32_e32 v7, v8, v10
	v_mov_b32_e32 v1, v4
	v_mad_u64_u32 v[7:8], s[18:19], v7, 24, v[1:2]
	v_mov_b32_e32 v4, v7
	global_load_dwordx2 v[7:8], v[3:4], off glc
	s_waitcnt vmcnt(0)
	global_atomic_cmpswap_x2 v[3:4], v2, v[7:10], s[2:3] offset:24 glc
	s_waitcnt vmcnt(0)
	buffer_wbinvl1_vol
	v_cmp_eq_u64_e32 vcc, v[3:4], v[9:10]
	s_or_b64 s[16:17], vcc, s[16:17]
	s_andn2_b64 exec, exec, s[16:17]
	s_cbranch_execnz .LBB1_266
; %bb.267:                              ;   in Loop: Header=BB1_263 Depth=1
	s_or_b64 exec, exec, s[16:17]
.LBB1_268:                              ;   in Loop: Header=BB1_263 Depth=1
	s_or_b64 exec, exec, s[14:15]
.LBB1_269:                              ;   in Loop: Header=BB1_263 Depth=1
	s_or_b64 exec, exec, s[12:13]
	s_waitcnt lgkmcnt(0)
	global_load_dwordx2 v[11:12], v2, s[2:3] offset:40
	global_load_dwordx4 v[7:10], v2, s[2:3]
	v_readfirstlane_b32 s13, v4
	v_readfirstlane_b32 s12, v3
	s_mov_b64 s[14:15], exec
	s_waitcnt vmcnt(1)
	v_readfirstlane_b32 s16, v11
	v_readfirstlane_b32 s17, v12
	s_and_b64 s[16:17], s[16:17], s[12:13]
	s_mul_i32 s18, s17, 24
	s_mul_hi_u32 s19, s16, 24
	s_mul_i32 s20, s16, 24
	s_add_i32 s18, s19, s18
	v_mov_b32_e32 v1, s18
	s_waitcnt vmcnt(0)
	v_add_co_u32_e32 v11, vcc, s20, v7
	v_addc_co_u32_e32 v12, vcc, v8, v1, vcc
	s_and_saveexec_b64 s[18:19], s[0:1]
	s_cbranch_execz .LBB1_271
; %bb.270:                              ;   in Loop: Header=BB1_263 Depth=1
	v_mov_b32_e32 v3, s14
	v_mov_b32_e32 v4, s15
	global_store_dwordx4 v[11:12], v[3:6], off offset:8
.LBB1_271:                              ;   in Loop: Header=BB1_263 Depth=1
	s_or_b64 exec, exec, s[18:19]
	s_lshl_b64 s[14:15], s[16:17], 12
	v_mov_b32_e32 v1, s15
	v_add_co_u32_e32 v13, vcc, s14, v9
	v_addc_co_u32_e32 v14, vcc, v10, v1, vcc
	v_mov_b32_e32 v18, s7
	v_lshlrev_b32_e32 v32, 6, v31
	v_mov_b32_e32 v1, v2
	v_mov_b32_e32 v3, v2
	v_readfirstlane_b32 s14, v13
	v_readfirstlane_b32 s15, v14
	v_mov_b32_e32 v17, s6
	v_mov_b32_e32 v16, s5
	v_mov_b32_e32 v15, s4
	s_nop 1
	global_store_dwordx4 v32, v[0:3], s[14:15]
	global_store_dwordx4 v32, v[15:18], s[14:15] offset:16
	global_store_dwordx4 v32, v[15:18], s[14:15] offset:32
	;; [unrolled: 1-line block ×3, first 2 shown]
	s_and_saveexec_b64 s[14:15], s[0:1]
	s_cbranch_execz .LBB1_279
; %bb.272:                              ;   in Loop: Header=BB1_263 Depth=1
	global_load_dwordx2 v[17:18], v2, s[2:3] offset:32 glc
	global_load_dwordx2 v[3:4], v2, s[2:3] offset:40
	v_mov_b32_e32 v15, s12
	v_mov_b32_e32 v16, s13
	s_waitcnt vmcnt(0)
	v_readfirstlane_b32 s16, v3
	v_readfirstlane_b32 s17, v4
	s_and_b64 s[16:17], s[16:17], s[12:13]
	s_mul_i32 s17, s17, 24
	s_mul_hi_u32 s18, s16, 24
	s_mul_i32 s16, s16, 24
	s_add_i32 s17, s18, s17
	v_mov_b32_e32 v1, s17
	v_add_co_u32_e32 v3, vcc, s16, v7
	v_addc_co_u32_e32 v4, vcc, v8, v1, vcc
	global_store_dwordx2 v[3:4], v[17:18], off
	s_waitcnt vmcnt(0)
	global_atomic_cmpswap_x2 v[9:10], v2, v[15:18], s[2:3] offset:32 glc
	s_waitcnt vmcnt(0)
	v_cmp_ne_u64_e32 vcc, v[9:10], v[17:18]
	s_and_saveexec_b64 s[16:17], vcc
	s_cbranch_execz .LBB1_275
; %bb.273:                              ;   in Loop: Header=BB1_263 Depth=1
	s_mov_b64 s[18:19], 0
.LBB1_274:                              ;   Parent Loop BB1_263 Depth=1
                                        ; =>  This Inner Loop Header: Depth=2
	s_sleep 1
	global_store_dwordx2 v[3:4], v[9:10], off
	v_mov_b32_e32 v7, s12
	v_mov_b32_e32 v8, s13
	s_waitcnt vmcnt(0)
	global_atomic_cmpswap_x2 v[7:8], v2, v[7:10], s[2:3] offset:32 glc
	s_waitcnt vmcnt(0)
	v_cmp_eq_u64_e32 vcc, v[7:8], v[9:10]
	v_mov_b32_e32 v10, v8
	s_or_b64 s[18:19], vcc, s[18:19]
	v_mov_b32_e32 v9, v7
	s_andn2_b64 exec, exec, s[18:19]
	s_cbranch_execnz .LBB1_274
.LBB1_275:                              ;   in Loop: Header=BB1_263 Depth=1
	s_or_b64 exec, exec, s[16:17]
	global_load_dwordx2 v[3:4], v2, s[2:3] offset:16
	s_mov_b64 s[18:19], exec
	v_mbcnt_lo_u32_b32 v1, s18, 0
	v_mbcnt_hi_u32_b32 v1, s19, v1
	v_cmp_eq_u32_e32 vcc, 0, v1
	s_and_saveexec_b64 s[16:17], vcc
	s_cbranch_execz .LBB1_277
; %bb.276:                              ;   in Loop: Header=BB1_263 Depth=1
	s_bcnt1_i32_b64 s18, s[18:19]
	v_mov_b32_e32 v1, s18
	s_waitcnt vmcnt(0)
	global_atomic_add_x2 v[3:4], v[1:2], off offset:8
.LBB1_277:                              ;   in Loop: Header=BB1_263 Depth=1
	s_or_b64 exec, exec, s[16:17]
	s_waitcnt vmcnt(0)
	global_load_dwordx2 v[7:8], v[3:4], off offset:16
	s_waitcnt vmcnt(0)
	v_cmp_eq_u64_e32 vcc, 0, v[7:8]
	s_cbranch_vccnz .LBB1_279
; %bb.278:                              ;   in Loop: Header=BB1_263 Depth=1
	global_load_dword v1, v[3:4], off offset:24
	s_waitcnt vmcnt(0)
	v_readfirstlane_b32 s16, v1
	s_and_b32 m0, s16, 0xffffff
	global_store_dwordx2 v[7:8], v[1:2], off
	s_sendmsg sendmsg(MSG_INTERRUPT)
.LBB1_279:                              ;   in Loop: Header=BB1_263 Depth=1
	s_or_b64 exec, exec, s[14:15]
	v_add_co_u32_e32 v3, vcc, v13, v32
	v_addc_co_u32_e32 v4, vcc, 0, v14, vcc
	s_branch .LBB1_283
.LBB1_280:                              ;   in Loop: Header=BB1_283 Depth=2
	s_or_b64 exec, exec, s[14:15]
	v_readfirstlane_b32 s14, v1
	s_cmp_eq_u32 s14, 0
	s_cbranch_scc1 .LBB1_282
; %bb.281:                              ;   in Loop: Header=BB1_283 Depth=2
	s_sleep 1
	s_cbranch_execnz .LBB1_283
	s_branch .LBB1_285
.LBB1_282:                              ;   in Loop: Header=BB1_263 Depth=1
	s_branch .LBB1_285
.LBB1_283:                              ;   Parent Loop BB1_263 Depth=1
                                        ; =>  This Inner Loop Header: Depth=2
	v_mov_b32_e32 v1, 1
	s_and_saveexec_b64 s[14:15], s[0:1]
	s_cbranch_execz .LBB1_280
; %bb.284:                              ;   in Loop: Header=BB1_283 Depth=2
	global_load_dword v1, v[11:12], off offset:20 glc
	s_waitcnt vmcnt(0)
	buffer_wbinvl1_vol
	v_and_b32_e32 v1, 1, v1
	s_branch .LBB1_280
.LBB1_285:                              ;   in Loop: Header=BB1_263 Depth=1
	global_load_dwordx2 v[11:12], v[3:4], off
	s_and_saveexec_b64 s[14:15], s[0:1]
	s_cbranch_execz .LBB1_289
; %bb.286:                              ;   in Loop: Header=BB1_263 Depth=1
	global_load_dwordx2 v[3:4], v2, s[2:3] offset:40
	global_load_dwordx2 v[15:16], v2, s[2:3] offset:24 glc
	global_load_dwordx2 v[7:8], v2, s[2:3]
	s_waitcnt vmcnt(2)
	v_readfirstlane_b32 s16, v3
	v_readfirstlane_b32 s17, v4
	s_add_u32 s18, s16, 1
	s_addc_u32 s19, s17, 0
	s_add_u32 s0, s18, s12
	s_addc_u32 s1, s19, s13
	s_cmp_eq_u64 s[0:1], 0
	s_cselect_b32 s1, s19, s1
	s_cselect_b32 s0, s18, s0
	s_and_b64 s[12:13], s[0:1], s[16:17]
	s_mul_i32 s13, s13, 24
	s_mul_hi_u32 s16, s12, 24
	s_mul_i32 s12, s12, 24
	s_add_i32 s13, s16, s13
	v_mov_b32_e32 v1, s13
	s_waitcnt vmcnt(0)
	v_add_co_u32_e32 v3, vcc, s12, v7
	v_addc_co_u32_e32 v4, vcc, v8, v1, vcc
	v_mov_b32_e32 v13, s0
	global_store_dwordx2 v[3:4], v[15:16], off
	v_mov_b32_e32 v14, s1
	s_waitcnt vmcnt(0)
	global_atomic_cmpswap_x2 v[9:10], v2, v[13:16], s[2:3] offset:24 glc
	s_waitcnt vmcnt(0)
	v_cmp_ne_u64_e32 vcc, v[9:10], v[15:16]
	s_and_b64 exec, exec, vcc
	s_cbranch_execz .LBB1_289
; %bb.287:                              ;   in Loop: Header=BB1_263 Depth=1
	s_mov_b64 s[12:13], 0
.LBB1_288:                              ;   Parent Loop BB1_263 Depth=1
                                        ; =>  This Inner Loop Header: Depth=2
	s_sleep 1
	global_store_dwordx2 v[3:4], v[9:10], off
	v_mov_b32_e32 v7, s0
	v_mov_b32_e32 v8, s1
	s_waitcnt vmcnt(0)
	global_atomic_cmpswap_x2 v[7:8], v2, v[7:10], s[2:3] offset:24 glc
	s_waitcnt vmcnt(0)
	v_cmp_eq_u64_e32 vcc, v[7:8], v[9:10]
	v_mov_b32_e32 v10, v8
	s_or_b64 s[12:13], vcc, s[12:13]
	v_mov_b32_e32 v9, v7
	s_andn2_b64 exec, exec, s[12:13]
	s_cbranch_execnz .LBB1_288
.LBB1_289:                              ;   in Loop: Header=BB1_263 Depth=1
	s_or_b64 exec, exec, s[14:15]
	s_and_b64 vcc, exec, s[8:9]
	s_cbranch_vccz .LBB1_461
; %bb.290:                              ;   in Loop: Header=BB1_263 Depth=1
	s_waitcnt vmcnt(0)
	v_and_b32_e32 v7, -3, v11
	v_mov_b32_e32 v8, v12
	s_mov_b64 s[14:15], 3
	s_getpc_b64 s[12:13]
	s_add_u32 s12, s12, .str@rel32@lo+4
	s_addc_u32 s13, s13, .str@rel32@hi+12
	s_branch .LBB1_292
.LBB1_291:                              ;   in Loop: Header=BB1_292 Depth=2
	s_or_b64 exec, exec, s[20:21]
	s_sub_u32 s14, s14, s16
	s_subb_u32 s15, s15, s17
	s_add_u32 s12, s12, s16
	s_addc_u32 s13, s13, s17
	s_cmp_lg_u64 s[14:15], 0
	s_cbranch_scc0 .LBB1_374
.LBB1_292:                              ;   Parent Loop BB1_263 Depth=1
                                        ; =>  This Loop Header: Depth=2
                                        ;       Child Loop BB1_295 Depth 3
                                        ;       Child Loop BB1_303 Depth 3
	;; [unrolled: 1-line block ×11, first 2 shown]
	v_cmp_lt_u64_e64 s[0:1], s[14:15], 56
	v_cmp_gt_u64_e64 s[18:19], s[14:15], 7
	s_and_b64 s[0:1], s[0:1], exec
	s_cselect_b32 s17, s15, 0
	s_cselect_b32 s16, s14, 56
	s_add_u32 s0, s12, 8
	s_addc_u32 s1, s13, 0
	s_and_b64 vcc, exec, s[18:19]
	s_cbranch_vccnz .LBB1_296
; %bb.293:                              ;   in Loop: Header=BB1_292 Depth=2
	s_cmp_eq_u64 s[14:15], 0
	s_cbranch_scc1 .LBB1_297
; %bb.294:                              ;   in Loop: Header=BB1_292 Depth=2
	v_mov_b32_e32 v9, 0
	s_lshl_b64 s[0:1], s[16:17], 3
	s_mov_b64 s[18:19], 0
	v_mov_b32_e32 v10, 0
	s_mov_b64 s[20:21], s[12:13]
.LBB1_295:                              ;   Parent Loop BB1_263 Depth=1
                                        ;     Parent Loop BB1_292 Depth=2
                                        ; =>    This Inner Loop Header: Depth=3
	global_load_ubyte v1, v2, s[20:21]
	s_waitcnt vmcnt(0)
	v_and_b32_e32 v1, 0xffff, v1
	v_lshlrev_b64 v[3:4], s18, v[1:2]
	s_add_u32 s18, s18, 8
	s_addc_u32 s19, s19, 0
	s_add_u32 s20, s20, 1
	s_addc_u32 s21, s21, 0
	v_or_b32_e32 v9, v3, v9
	s_cmp_lg_u32 s0, s18
	v_or_b32_e32 v10, v4, v10
	s_cbranch_scc1 .LBB1_295
	s_branch .LBB1_298
.LBB1_296:                              ;   in Loop: Header=BB1_292 Depth=2
	s_mov_b32 s22, 0
	s_branch .LBB1_299
.LBB1_297:                              ;   in Loop: Header=BB1_292 Depth=2
	v_mov_b32_e32 v9, 0
	v_mov_b32_e32 v10, 0
.LBB1_298:                              ;   in Loop: Header=BB1_292 Depth=2
	s_mov_b64 s[0:1], s[12:13]
	s_mov_b32 s22, 0
	s_cbranch_execnz .LBB1_300
.LBB1_299:                              ;   in Loop: Header=BB1_292 Depth=2
	global_load_dwordx2 v[9:10], v2, s[12:13]
	s_add_i32 s22, s16, -8
.LBB1_300:                              ;   in Loop: Header=BB1_292 Depth=2
	s_add_u32 s18, s0, 8
	s_addc_u32 s19, s1, 0
	s_cmp_gt_u32 s22, 7
	s_cbranch_scc1 .LBB1_304
; %bb.301:                              ;   in Loop: Header=BB1_292 Depth=2
	s_cmp_eq_u32 s22, 0
	s_cbranch_scc1 .LBB1_305
; %bb.302:                              ;   in Loop: Header=BB1_292 Depth=2
	v_mov_b32_e32 v13, 0
	s_mov_b64 s[18:19], 0
	v_mov_b32_e32 v14, 0
	s_mov_b64 s[20:21], 0
.LBB1_303:                              ;   Parent Loop BB1_263 Depth=1
                                        ;     Parent Loop BB1_292 Depth=2
                                        ; =>    This Inner Loop Header: Depth=3
	s_add_u32 s24, s0, s20
	s_addc_u32 s25, s1, s21
	global_load_ubyte v1, v2, s[24:25]
	s_add_u32 s20, s20, 1
	s_addc_u32 s21, s21, 0
	s_waitcnt vmcnt(0)
	v_and_b32_e32 v1, 0xffff, v1
	v_lshlrev_b64 v[3:4], s18, v[1:2]
	s_add_u32 s18, s18, 8
	s_addc_u32 s19, s19, 0
	v_or_b32_e32 v13, v3, v13
	s_cmp_lg_u32 s22, s20
	v_or_b32_e32 v14, v4, v14
	s_cbranch_scc1 .LBB1_303
	s_branch .LBB1_306
.LBB1_304:                              ;   in Loop: Header=BB1_292 Depth=2
                                        ; implicit-def: $vgpr13_vgpr14
	s_mov_b32 s23, 0
	s_branch .LBB1_307
.LBB1_305:                              ;   in Loop: Header=BB1_292 Depth=2
	v_mov_b32_e32 v13, 0
	v_mov_b32_e32 v14, 0
.LBB1_306:                              ;   in Loop: Header=BB1_292 Depth=2
	s_mov_b64 s[18:19], s[0:1]
	s_mov_b32 s23, 0
	s_cbranch_execnz .LBB1_308
.LBB1_307:                              ;   in Loop: Header=BB1_292 Depth=2
	global_load_dwordx2 v[13:14], v2, s[0:1]
	s_add_i32 s23, s22, -8
.LBB1_308:                              ;   in Loop: Header=BB1_292 Depth=2
	s_add_u32 s0, s18, 8
	s_addc_u32 s1, s19, 0
	s_cmp_gt_u32 s23, 7
	s_cbranch_scc1 .LBB1_312
; %bb.309:                              ;   in Loop: Header=BB1_292 Depth=2
	s_cmp_eq_u32 s23, 0
	s_cbranch_scc1 .LBB1_313
; %bb.310:                              ;   in Loop: Header=BB1_292 Depth=2
	v_mov_b32_e32 v15, 0
	s_mov_b64 s[0:1], 0
	v_mov_b32_e32 v16, 0
	s_mov_b64 s[20:21], 0
.LBB1_311:                              ;   Parent Loop BB1_263 Depth=1
                                        ;     Parent Loop BB1_292 Depth=2
                                        ; =>    This Inner Loop Header: Depth=3
	s_add_u32 s24, s18, s20
	s_addc_u32 s25, s19, s21
	global_load_ubyte v1, v2, s[24:25]
	s_add_u32 s20, s20, 1
	s_addc_u32 s21, s21, 0
	s_waitcnt vmcnt(0)
	v_and_b32_e32 v1, 0xffff, v1
	v_lshlrev_b64 v[3:4], s0, v[1:2]
	s_add_u32 s0, s0, 8
	s_addc_u32 s1, s1, 0
	v_or_b32_e32 v15, v3, v15
	s_cmp_lg_u32 s23, s20
	v_or_b32_e32 v16, v4, v16
	s_cbranch_scc1 .LBB1_311
	s_branch .LBB1_314
.LBB1_312:                              ;   in Loop: Header=BB1_292 Depth=2
	s_mov_b32 s22, 0
	s_branch .LBB1_315
.LBB1_313:                              ;   in Loop: Header=BB1_292 Depth=2
	v_mov_b32_e32 v15, 0
	v_mov_b32_e32 v16, 0
.LBB1_314:                              ;   in Loop: Header=BB1_292 Depth=2
	s_mov_b64 s[0:1], s[18:19]
	s_mov_b32 s22, 0
	s_cbranch_execnz .LBB1_316
.LBB1_315:                              ;   in Loop: Header=BB1_292 Depth=2
	global_load_dwordx2 v[15:16], v2, s[18:19]
	s_add_i32 s22, s23, -8
.LBB1_316:                              ;   in Loop: Header=BB1_292 Depth=2
	s_add_u32 s18, s0, 8
	s_addc_u32 s19, s1, 0
	s_cmp_gt_u32 s22, 7
	s_cbranch_scc1 .LBB1_320
; %bb.317:                              ;   in Loop: Header=BB1_292 Depth=2
	s_cmp_eq_u32 s22, 0
	s_cbranch_scc1 .LBB1_321
; %bb.318:                              ;   in Loop: Header=BB1_292 Depth=2
	v_mov_b32_e32 v17, 0
	s_mov_b64 s[18:19], 0
	v_mov_b32_e32 v18, 0
	s_mov_b64 s[20:21], 0
.LBB1_319:                              ;   Parent Loop BB1_263 Depth=1
                                        ;     Parent Loop BB1_292 Depth=2
                                        ; =>    This Inner Loop Header: Depth=3
	s_add_u32 s24, s0, s20
	s_addc_u32 s25, s1, s21
	global_load_ubyte v1, v2, s[24:25]
	s_add_u32 s20, s20, 1
	s_addc_u32 s21, s21, 0
	s_waitcnt vmcnt(0)
	v_and_b32_e32 v1, 0xffff, v1
	v_lshlrev_b64 v[3:4], s18, v[1:2]
	s_add_u32 s18, s18, 8
	s_addc_u32 s19, s19, 0
	v_or_b32_e32 v17, v3, v17
	s_cmp_lg_u32 s22, s20
	v_or_b32_e32 v18, v4, v18
	s_cbranch_scc1 .LBB1_319
	s_branch .LBB1_322
.LBB1_320:                              ;   in Loop: Header=BB1_292 Depth=2
                                        ; implicit-def: $vgpr17_vgpr18
	s_mov_b32 s23, 0
	s_branch .LBB1_323
.LBB1_321:                              ;   in Loop: Header=BB1_292 Depth=2
	v_mov_b32_e32 v17, 0
	v_mov_b32_e32 v18, 0
.LBB1_322:                              ;   in Loop: Header=BB1_292 Depth=2
	s_mov_b64 s[18:19], s[0:1]
	s_mov_b32 s23, 0
	s_cbranch_execnz .LBB1_324
.LBB1_323:                              ;   in Loop: Header=BB1_292 Depth=2
	global_load_dwordx2 v[17:18], v2, s[0:1]
	s_add_i32 s23, s22, -8
.LBB1_324:                              ;   in Loop: Header=BB1_292 Depth=2
	s_add_u32 s0, s18, 8
	s_addc_u32 s1, s19, 0
	s_cmp_gt_u32 s23, 7
	s_cbranch_scc1 .LBB1_328
; %bb.325:                              ;   in Loop: Header=BB1_292 Depth=2
	s_cmp_eq_u32 s23, 0
	s_cbranch_scc1 .LBB1_329
; %bb.326:                              ;   in Loop: Header=BB1_292 Depth=2
	v_mov_b32_e32 v19, 0
	s_mov_b64 s[0:1], 0
	v_mov_b32_e32 v20, 0
	s_mov_b64 s[20:21], 0
.LBB1_327:                              ;   Parent Loop BB1_263 Depth=1
                                        ;     Parent Loop BB1_292 Depth=2
                                        ; =>    This Inner Loop Header: Depth=3
	s_add_u32 s24, s18, s20
	s_addc_u32 s25, s19, s21
	global_load_ubyte v1, v2, s[24:25]
	s_add_u32 s20, s20, 1
	s_addc_u32 s21, s21, 0
	s_waitcnt vmcnt(0)
	v_and_b32_e32 v1, 0xffff, v1
	v_lshlrev_b64 v[3:4], s0, v[1:2]
	s_add_u32 s0, s0, 8
	s_addc_u32 s1, s1, 0
	v_or_b32_e32 v19, v3, v19
	s_cmp_lg_u32 s23, s20
	v_or_b32_e32 v20, v4, v20
	s_cbranch_scc1 .LBB1_327
	s_branch .LBB1_330
.LBB1_328:                              ;   in Loop: Header=BB1_292 Depth=2
	s_mov_b32 s22, 0
	s_branch .LBB1_331
.LBB1_329:                              ;   in Loop: Header=BB1_292 Depth=2
	v_mov_b32_e32 v19, 0
	v_mov_b32_e32 v20, 0
.LBB1_330:                              ;   in Loop: Header=BB1_292 Depth=2
	s_mov_b64 s[0:1], s[18:19]
	s_mov_b32 s22, 0
	s_cbranch_execnz .LBB1_332
.LBB1_331:                              ;   in Loop: Header=BB1_292 Depth=2
	global_load_dwordx2 v[19:20], v2, s[18:19]
	s_add_i32 s22, s23, -8
.LBB1_332:                              ;   in Loop: Header=BB1_292 Depth=2
	s_add_u32 s18, s0, 8
	s_addc_u32 s19, s1, 0
	s_cmp_gt_u32 s22, 7
	s_cbranch_scc1 .LBB1_336
; %bb.333:                              ;   in Loop: Header=BB1_292 Depth=2
	s_cmp_eq_u32 s22, 0
	s_cbranch_scc1 .LBB1_337
; %bb.334:                              ;   in Loop: Header=BB1_292 Depth=2
	v_mov_b32_e32 v21, 0
	s_mov_b64 s[18:19], 0
	v_mov_b32_e32 v22, 0
	s_mov_b64 s[20:21], 0
.LBB1_335:                              ;   Parent Loop BB1_263 Depth=1
                                        ;     Parent Loop BB1_292 Depth=2
                                        ; =>    This Inner Loop Header: Depth=3
	s_add_u32 s24, s0, s20
	s_addc_u32 s25, s1, s21
	global_load_ubyte v1, v2, s[24:25]
	s_add_u32 s20, s20, 1
	s_addc_u32 s21, s21, 0
	s_waitcnt vmcnt(0)
	v_and_b32_e32 v1, 0xffff, v1
	v_lshlrev_b64 v[3:4], s18, v[1:2]
	s_add_u32 s18, s18, 8
	s_addc_u32 s19, s19, 0
	v_or_b32_e32 v21, v3, v21
	s_cmp_lg_u32 s22, s20
	v_or_b32_e32 v22, v4, v22
	s_cbranch_scc1 .LBB1_335
	s_branch .LBB1_338
.LBB1_336:                              ;   in Loop: Header=BB1_292 Depth=2
                                        ; implicit-def: $vgpr21_vgpr22
	s_mov_b32 s23, 0
	s_branch .LBB1_339
.LBB1_337:                              ;   in Loop: Header=BB1_292 Depth=2
	v_mov_b32_e32 v21, 0
	v_mov_b32_e32 v22, 0
.LBB1_338:                              ;   in Loop: Header=BB1_292 Depth=2
	s_mov_b64 s[18:19], s[0:1]
	s_mov_b32 s23, 0
	s_cbranch_execnz .LBB1_340
.LBB1_339:                              ;   in Loop: Header=BB1_292 Depth=2
	global_load_dwordx2 v[21:22], v2, s[0:1]
	s_add_i32 s23, s22, -8
.LBB1_340:                              ;   in Loop: Header=BB1_292 Depth=2
	s_cmp_gt_u32 s23, 7
	s_cbranch_scc1 .LBB1_344
; %bb.341:                              ;   in Loop: Header=BB1_292 Depth=2
	s_cmp_eq_u32 s23, 0
	s_cbranch_scc1 .LBB1_345
; %bb.342:                              ;   in Loop: Header=BB1_292 Depth=2
	v_mov_b32_e32 v23, 0
	s_mov_b64 s[0:1], 0
	v_mov_b32_e32 v24, 0
	s_mov_b64 s[20:21], s[18:19]
.LBB1_343:                              ;   Parent Loop BB1_263 Depth=1
                                        ;     Parent Loop BB1_292 Depth=2
                                        ; =>    This Inner Loop Header: Depth=3
	global_load_ubyte v1, v2, s[20:21]
	s_add_i32 s23, s23, -1
	s_waitcnt vmcnt(0)
	v_and_b32_e32 v1, 0xffff, v1
	v_lshlrev_b64 v[3:4], s0, v[1:2]
	s_add_u32 s0, s0, 8
	s_addc_u32 s1, s1, 0
	s_add_u32 s20, s20, 1
	s_addc_u32 s21, s21, 0
	v_or_b32_e32 v23, v3, v23
	s_cmp_lg_u32 s23, 0
	v_or_b32_e32 v24, v4, v24
	s_cbranch_scc1 .LBB1_343
	s_branch .LBB1_346
.LBB1_344:                              ;   in Loop: Header=BB1_292 Depth=2
	s_branch .LBB1_347
.LBB1_345:                              ;   in Loop: Header=BB1_292 Depth=2
	v_mov_b32_e32 v23, 0
	v_mov_b32_e32 v24, 0
.LBB1_346:                              ;   in Loop: Header=BB1_292 Depth=2
	s_cbranch_execnz .LBB1_348
.LBB1_347:                              ;   in Loop: Header=BB1_292 Depth=2
	global_load_dwordx2 v[23:24], v2, s[18:19]
.LBB1_348:                              ;   in Loop: Header=BB1_292 Depth=2
	v_readfirstlane_b32 s0, v31
	v_mov_b32_e32 v3, 0
	v_mov_b32_e32 v4, 0
	v_cmp_eq_u32_e64 s[0:1], s0, v31
	s_and_saveexec_b64 s[18:19], s[0:1]
	s_cbranch_execz .LBB1_354
; %bb.349:                              ;   in Loop: Header=BB1_292 Depth=2
	global_load_dwordx2 v[27:28], v2, s[2:3] offset:24 glc
	s_waitcnt vmcnt(0)
	buffer_wbinvl1_vol
	global_load_dwordx2 v[3:4], v2, s[2:3] offset:40
	global_load_dwordx2 v[25:26], v2, s[2:3]
	s_waitcnt vmcnt(1)
	v_and_b32_e32 v1, v3, v27
	v_and_b32_e32 v3, v4, v28
	v_mul_lo_u32 v3, v3, 24
	v_mul_hi_u32 v4, v1, 24
	v_mul_lo_u32 v1, v1, 24
	v_add_u32_e32 v4, v4, v3
	s_waitcnt vmcnt(0)
	v_add_co_u32_e32 v3, vcc, v25, v1
	v_addc_co_u32_e32 v4, vcc, v26, v4, vcc
	global_load_dwordx2 v[25:26], v[3:4], off glc
	s_waitcnt vmcnt(0)
	global_atomic_cmpswap_x2 v[3:4], v2, v[25:28], s[2:3] offset:24 glc
	s_waitcnt vmcnt(0)
	buffer_wbinvl1_vol
	v_cmp_ne_u64_e32 vcc, v[3:4], v[27:28]
	s_and_saveexec_b64 s[20:21], vcc
	s_cbranch_execz .LBB1_353
; %bb.350:                              ;   in Loop: Header=BB1_292 Depth=2
	s_mov_b64 s[22:23], 0
.LBB1_351:                              ;   Parent Loop BB1_263 Depth=1
                                        ;     Parent Loop BB1_292 Depth=2
                                        ; =>    This Inner Loop Header: Depth=3
	s_sleep 1
	global_load_dwordx2 v[25:26], v2, s[2:3] offset:40
	global_load_dwordx2 v[29:30], v2, s[2:3]
	v_mov_b32_e32 v28, v4
	v_mov_b32_e32 v27, v3
	s_waitcnt vmcnt(1)
	v_and_b32_e32 v1, v25, v27
	s_waitcnt vmcnt(0)
	v_mad_u64_u32 v[3:4], s[24:25], v1, 24, v[29:30]
	v_and_b32_e32 v25, v26, v28
	v_mov_b32_e32 v1, v4
	v_mad_u64_u32 v[25:26], s[24:25], v25, 24, v[1:2]
	v_mov_b32_e32 v4, v25
	global_load_dwordx2 v[25:26], v[3:4], off glc
	s_waitcnt vmcnt(0)
	global_atomic_cmpswap_x2 v[3:4], v2, v[25:28], s[2:3] offset:24 glc
	s_waitcnt vmcnt(0)
	buffer_wbinvl1_vol
	v_cmp_eq_u64_e32 vcc, v[3:4], v[27:28]
	s_or_b64 s[22:23], vcc, s[22:23]
	s_andn2_b64 exec, exec, s[22:23]
	s_cbranch_execnz .LBB1_351
; %bb.352:                              ;   in Loop: Header=BB1_292 Depth=2
	s_or_b64 exec, exec, s[22:23]
.LBB1_353:                              ;   in Loop: Header=BB1_292 Depth=2
	s_or_b64 exec, exec, s[20:21]
.LBB1_354:                              ;   in Loop: Header=BB1_292 Depth=2
	s_or_b64 exec, exec, s[18:19]
	global_load_dwordx2 v[29:30], v2, s[2:3] offset:40
	global_load_dwordx4 v[25:28], v2, s[2:3]
	v_readfirstlane_b32 s19, v4
	v_readfirstlane_b32 s18, v3
	s_mov_b64 s[20:21], exec
	s_waitcnt vmcnt(1)
	v_readfirstlane_b32 s22, v29
	v_readfirstlane_b32 s23, v30
	s_and_b64 s[22:23], s[22:23], s[18:19]
	s_mul_i32 s24, s23, 24
	s_mul_hi_u32 s25, s22, 24
	s_mul_i32 s29, s22, 24
	s_add_i32 s24, s25, s24
	v_mov_b32_e32 v1, s24
	s_waitcnt vmcnt(0)
	v_add_co_u32_e32 v29, vcc, s29, v25
	v_addc_co_u32_e32 v30, vcc, v26, v1, vcc
	s_and_saveexec_b64 s[24:25], s[0:1]
	s_cbranch_execz .LBB1_356
; %bb.355:                              ;   in Loop: Header=BB1_292 Depth=2
	v_mov_b32_e32 v3, s20
	v_mov_b32_e32 v4, s21
	global_store_dwordx4 v[29:30], v[3:6], off offset:8
.LBB1_356:                              ;   in Loop: Header=BB1_292 Depth=2
	s_or_b64 exec, exec, s[24:25]
	s_lshl_b64 s[20:21], s[22:23], 12
	v_mov_b32_e32 v1, s21
	v_add_co_u32_e32 v27, vcc, s20, v27
	v_addc_co_u32_e32 v28, vcc, v28, v1, vcc
	v_cmp_lt_u64_e64 vcc, s[14:15], 57
	v_and_b32_e32 v1, 2, v11
	s_lshl_b32 s20, s16, 2
	v_cndmask_b32_e32 v1, 0, v1, vcc
	s_add_i32 s20, s20, 28
	v_and_b32_e32 v3, 0xffffff1f, v7
	s_and_b32 s20, s20, 0x1e0
	v_or_b32_e32 v1, v3, v1
	v_or_b32_e32 v7, s20, v1
	v_readfirstlane_b32 s20, v27
	v_readfirstlane_b32 s21, v28
	s_nop 4
	global_store_dwordx4 v32, v[7:10], s[20:21]
	global_store_dwordx4 v32, v[13:16], s[20:21] offset:16
	global_store_dwordx4 v32, v[17:20], s[20:21] offset:32
	;; [unrolled: 1-line block ×3, first 2 shown]
	s_and_saveexec_b64 s[20:21], s[0:1]
	s_cbranch_execz .LBB1_364
; %bb.357:                              ;   in Loop: Header=BB1_292 Depth=2
	global_load_dwordx2 v[15:16], v2, s[2:3] offset:32 glc
	global_load_dwordx2 v[3:4], v2, s[2:3] offset:40
	v_mov_b32_e32 v13, s18
	v_mov_b32_e32 v14, s19
	s_waitcnt vmcnt(0)
	v_readfirstlane_b32 s22, v3
	v_readfirstlane_b32 s23, v4
	s_and_b64 s[22:23], s[22:23], s[18:19]
	s_mul_i32 s23, s23, 24
	s_mul_hi_u32 s24, s22, 24
	s_mul_i32 s22, s22, 24
	s_add_i32 s23, s24, s23
	v_mov_b32_e32 v1, s23
	v_add_co_u32_e32 v3, vcc, s22, v25
	v_addc_co_u32_e32 v4, vcc, v26, v1, vcc
	global_store_dwordx2 v[3:4], v[15:16], off
	s_waitcnt vmcnt(0)
	global_atomic_cmpswap_x2 v[9:10], v2, v[13:16], s[2:3] offset:32 glc
	s_waitcnt vmcnt(0)
	v_cmp_ne_u64_e32 vcc, v[9:10], v[15:16]
	s_and_saveexec_b64 s[22:23], vcc
	s_cbranch_execz .LBB1_360
; %bb.358:                              ;   in Loop: Header=BB1_292 Depth=2
	s_mov_b64 s[24:25], 0
.LBB1_359:                              ;   Parent Loop BB1_263 Depth=1
                                        ;     Parent Loop BB1_292 Depth=2
                                        ; =>    This Inner Loop Header: Depth=3
	s_sleep 1
	global_store_dwordx2 v[3:4], v[9:10], off
	v_mov_b32_e32 v7, s18
	v_mov_b32_e32 v8, s19
	s_waitcnt vmcnt(0)
	global_atomic_cmpswap_x2 v[7:8], v2, v[7:10], s[2:3] offset:32 glc
	s_waitcnt vmcnt(0)
	v_cmp_eq_u64_e32 vcc, v[7:8], v[9:10]
	v_mov_b32_e32 v10, v8
	s_or_b64 s[24:25], vcc, s[24:25]
	v_mov_b32_e32 v9, v7
	s_andn2_b64 exec, exec, s[24:25]
	s_cbranch_execnz .LBB1_359
.LBB1_360:                              ;   in Loop: Header=BB1_292 Depth=2
	s_or_b64 exec, exec, s[22:23]
	global_load_dwordx2 v[3:4], v2, s[2:3] offset:16
	s_mov_b64 s[24:25], exec
	v_mbcnt_lo_u32_b32 v1, s24, 0
	v_mbcnt_hi_u32_b32 v1, s25, v1
	v_cmp_eq_u32_e32 vcc, 0, v1
	s_and_saveexec_b64 s[22:23], vcc
	s_cbranch_execz .LBB1_362
; %bb.361:                              ;   in Loop: Header=BB1_292 Depth=2
	s_bcnt1_i32_b64 s24, s[24:25]
	v_mov_b32_e32 v1, s24
	s_waitcnt vmcnt(0)
	global_atomic_add_x2 v[3:4], v[1:2], off offset:8
.LBB1_362:                              ;   in Loop: Header=BB1_292 Depth=2
	s_or_b64 exec, exec, s[22:23]
	s_waitcnt vmcnt(0)
	global_load_dwordx2 v[7:8], v[3:4], off offset:16
	s_waitcnt vmcnt(0)
	v_cmp_eq_u64_e32 vcc, 0, v[7:8]
	s_cbranch_vccnz .LBB1_364
; %bb.363:                              ;   in Loop: Header=BB1_292 Depth=2
	global_load_dword v1, v[3:4], off offset:24
	s_waitcnt vmcnt(0)
	v_readfirstlane_b32 s22, v1
	s_and_b32 m0, s22, 0xffffff
	global_store_dwordx2 v[7:8], v[1:2], off
	s_sendmsg sendmsg(MSG_INTERRUPT)
.LBB1_364:                              ;   in Loop: Header=BB1_292 Depth=2
	s_or_b64 exec, exec, s[20:21]
	v_add_co_u32_e32 v3, vcc, v27, v32
	v_addc_co_u32_e32 v4, vcc, 0, v28, vcc
	s_branch .LBB1_368
.LBB1_365:                              ;   in Loop: Header=BB1_368 Depth=3
	s_or_b64 exec, exec, s[20:21]
	v_readfirstlane_b32 s20, v1
	s_cmp_eq_u32 s20, 0
	s_cbranch_scc1 .LBB1_367
; %bb.366:                              ;   in Loop: Header=BB1_368 Depth=3
	s_sleep 1
	s_cbranch_execnz .LBB1_368
	s_branch .LBB1_370
.LBB1_367:                              ;   in Loop: Header=BB1_292 Depth=2
	s_branch .LBB1_370
.LBB1_368:                              ;   Parent Loop BB1_263 Depth=1
                                        ;     Parent Loop BB1_292 Depth=2
                                        ; =>    This Inner Loop Header: Depth=3
	v_mov_b32_e32 v1, 1
	s_and_saveexec_b64 s[20:21], s[0:1]
	s_cbranch_execz .LBB1_365
; %bb.369:                              ;   in Loop: Header=BB1_368 Depth=3
	global_load_dword v1, v[29:30], off offset:20 glc
	s_waitcnt vmcnt(0)
	buffer_wbinvl1_vol
	v_and_b32_e32 v1, 1, v1
	s_branch .LBB1_365
.LBB1_370:                              ;   in Loop: Header=BB1_292 Depth=2
	global_load_dwordx2 v[7:8], v[3:4], off
	s_and_saveexec_b64 s[20:21], s[0:1]
	s_cbranch_execz .LBB1_291
; %bb.371:                              ;   in Loop: Header=BB1_292 Depth=2
	global_load_dwordx2 v[3:4], v2, s[2:3] offset:40
	global_load_dwordx2 v[17:18], v2, s[2:3] offset:24 glc
	global_load_dwordx2 v[9:10], v2, s[2:3]
	s_waitcnt vmcnt(2)
	v_readfirstlane_b32 s22, v3
	v_readfirstlane_b32 s23, v4
	s_add_u32 s24, s22, 1
	s_addc_u32 s25, s23, 0
	s_add_u32 s0, s24, s18
	s_addc_u32 s1, s25, s19
	s_cmp_eq_u64 s[0:1], 0
	s_cselect_b32 s1, s25, s1
	s_cselect_b32 s0, s24, s0
	s_and_b64 s[18:19], s[0:1], s[22:23]
	s_mul_i32 s19, s19, 24
	s_mul_hi_u32 s22, s18, 24
	s_mul_i32 s18, s18, 24
	s_add_i32 s19, s22, s19
	v_mov_b32_e32 v1, s19
	s_waitcnt vmcnt(0)
	v_add_co_u32_e32 v3, vcc, s18, v9
	v_addc_co_u32_e32 v4, vcc, v10, v1, vcc
	v_mov_b32_e32 v15, s0
	global_store_dwordx2 v[3:4], v[17:18], off
	v_mov_b32_e32 v16, s1
	s_waitcnt vmcnt(0)
	global_atomic_cmpswap_x2 v[15:16], v2, v[15:18], s[2:3] offset:24 glc
	s_waitcnt vmcnt(0)
	v_cmp_ne_u64_e32 vcc, v[15:16], v[17:18]
	s_and_b64 exec, exec, vcc
	s_cbranch_execz .LBB1_291
; %bb.372:                              ;   in Loop: Header=BB1_292 Depth=2
	s_mov_b64 s[18:19], 0
.LBB1_373:                              ;   Parent Loop BB1_263 Depth=1
                                        ;     Parent Loop BB1_292 Depth=2
                                        ; =>    This Inner Loop Header: Depth=3
	s_sleep 1
	global_store_dwordx2 v[3:4], v[15:16], off
	v_mov_b32_e32 v13, s0
	v_mov_b32_e32 v14, s1
	s_waitcnt vmcnt(0)
	global_atomic_cmpswap_x2 v[9:10], v2, v[13:16], s[2:3] offset:24 glc
	s_waitcnt vmcnt(0)
	v_cmp_eq_u64_e32 vcc, v[9:10], v[15:16]
	v_mov_b32_e32 v16, v10
	s_or_b64 s[18:19], vcc, s[18:19]
	v_mov_b32_e32 v15, v9
	s_andn2_b64 exec, exec, s[18:19]
	s_cbranch_execnz .LBB1_373
	s_branch .LBB1_291
.LBB1_374:                              ;   in Loop: Header=BB1_263 Depth=1
.LBB1_375:                              ;   in Loop: Header=BB1_263 Depth=1
	s_and_b64 vcc, exec, s[10:11]
	s_cbranch_vccz .LBB1_489
.LBB1_376:                              ;   in Loop: Header=BB1_263 Depth=1
	s_waitcnt vmcnt(0)
	v_and_b32_e32 v9, -3, v7
	v_mov_b32_e32 v10, v8
	s_mov_b64 s[14:15], 56
	s_getpc_b64 s[12:13]
	s_add_u32 s12, s12, .str.2@rel32@lo+4
	s_addc_u32 s13, s13, .str.2@rel32@hi+12
	s_branch .LBB1_378
.LBB1_377:                              ;   in Loop: Header=BB1_378 Depth=2
	s_or_b64 exec, exec, s[20:21]
	s_sub_u32 s14, s14, s16
	s_subb_u32 s15, s15, s17
	s_add_u32 s12, s12, s16
	s_addc_u32 s13, s13, s17
	s_cmp_lg_u64 s[14:15], 0
	s_cbranch_scc0 .LBB1_460
.LBB1_378:                              ;   Parent Loop BB1_263 Depth=1
                                        ; =>  This Loop Header: Depth=2
                                        ;       Child Loop BB1_381 Depth 3
                                        ;       Child Loop BB1_389 Depth 3
	;; [unrolled: 1-line block ×11, first 2 shown]
	v_cmp_lt_u64_e64 s[0:1], s[14:15], 56
	v_cmp_gt_u64_e64 s[18:19], s[14:15], 7
	s_and_b64 s[0:1], s[0:1], exec
	s_cselect_b32 s17, s15, 0
	s_cselect_b32 s16, s14, 56
	s_add_u32 s0, s12, 8
	s_addc_u32 s1, s13, 0
	s_and_b64 vcc, exec, s[18:19]
	s_cbranch_vccnz .LBB1_382
; %bb.379:                              ;   in Loop: Header=BB1_378 Depth=2
	s_cmp_eq_u64 s[14:15], 0
	s_cbranch_scc1 .LBB1_383
; %bb.380:                              ;   in Loop: Header=BB1_378 Depth=2
	s_waitcnt vmcnt(0)
	v_mov_b32_e32 v11, 0
	s_lshl_b64 s[0:1], s[16:17], 3
	s_mov_b64 s[18:19], 0
	v_mov_b32_e32 v12, 0
	s_mov_b64 s[20:21], s[12:13]
.LBB1_381:                              ;   Parent Loop BB1_263 Depth=1
                                        ;     Parent Loop BB1_378 Depth=2
                                        ; =>    This Inner Loop Header: Depth=3
	global_load_ubyte v1, v2, s[20:21]
	s_waitcnt vmcnt(0)
	v_and_b32_e32 v1, 0xffff, v1
	v_lshlrev_b64 v[3:4], s18, v[1:2]
	s_add_u32 s18, s18, 8
	s_addc_u32 s19, s19, 0
	s_add_u32 s20, s20, 1
	s_addc_u32 s21, s21, 0
	v_or_b32_e32 v11, v3, v11
	s_cmp_lg_u32 s0, s18
	v_or_b32_e32 v12, v4, v12
	s_cbranch_scc1 .LBB1_381
	s_branch .LBB1_384
.LBB1_382:                              ;   in Loop: Header=BB1_378 Depth=2
	s_mov_b32 s22, 0
	s_branch .LBB1_385
.LBB1_383:                              ;   in Loop: Header=BB1_378 Depth=2
	s_waitcnt vmcnt(0)
	v_mov_b32_e32 v11, 0
	v_mov_b32_e32 v12, 0
.LBB1_384:                              ;   in Loop: Header=BB1_378 Depth=2
	s_mov_b64 s[0:1], s[12:13]
	s_mov_b32 s22, 0
	s_cbranch_execnz .LBB1_386
.LBB1_385:                              ;   in Loop: Header=BB1_378 Depth=2
	global_load_dwordx2 v[11:12], v2, s[12:13]
	s_add_i32 s22, s16, -8
.LBB1_386:                              ;   in Loop: Header=BB1_378 Depth=2
	s_add_u32 s18, s0, 8
	s_addc_u32 s19, s1, 0
	s_cmp_gt_u32 s22, 7
	s_cbranch_scc1 .LBB1_390
; %bb.387:                              ;   in Loop: Header=BB1_378 Depth=2
	s_cmp_eq_u32 s22, 0
	s_cbranch_scc1 .LBB1_391
; %bb.388:                              ;   in Loop: Header=BB1_378 Depth=2
	v_mov_b32_e32 v13, 0
	s_mov_b64 s[18:19], 0
	v_mov_b32_e32 v14, 0
	s_mov_b64 s[20:21], 0
.LBB1_389:                              ;   Parent Loop BB1_263 Depth=1
                                        ;     Parent Loop BB1_378 Depth=2
                                        ; =>    This Inner Loop Header: Depth=3
	s_add_u32 s24, s0, s20
	s_addc_u32 s25, s1, s21
	global_load_ubyte v1, v2, s[24:25]
	s_add_u32 s20, s20, 1
	s_addc_u32 s21, s21, 0
	s_waitcnt vmcnt(0)
	v_and_b32_e32 v1, 0xffff, v1
	v_lshlrev_b64 v[3:4], s18, v[1:2]
	s_add_u32 s18, s18, 8
	s_addc_u32 s19, s19, 0
	v_or_b32_e32 v13, v3, v13
	s_cmp_lg_u32 s22, s20
	v_or_b32_e32 v14, v4, v14
	s_cbranch_scc1 .LBB1_389
	s_branch .LBB1_392
.LBB1_390:                              ;   in Loop: Header=BB1_378 Depth=2
                                        ; implicit-def: $vgpr13_vgpr14
	s_mov_b32 s23, 0
	s_branch .LBB1_393
.LBB1_391:                              ;   in Loop: Header=BB1_378 Depth=2
	v_mov_b32_e32 v13, 0
	v_mov_b32_e32 v14, 0
.LBB1_392:                              ;   in Loop: Header=BB1_378 Depth=2
	s_mov_b64 s[18:19], s[0:1]
	s_mov_b32 s23, 0
	s_cbranch_execnz .LBB1_394
.LBB1_393:                              ;   in Loop: Header=BB1_378 Depth=2
	global_load_dwordx2 v[13:14], v2, s[0:1]
	s_add_i32 s23, s22, -8
.LBB1_394:                              ;   in Loop: Header=BB1_378 Depth=2
	s_add_u32 s0, s18, 8
	s_addc_u32 s1, s19, 0
	s_cmp_gt_u32 s23, 7
	s_cbranch_scc1 .LBB1_398
; %bb.395:                              ;   in Loop: Header=BB1_378 Depth=2
	s_cmp_eq_u32 s23, 0
	s_cbranch_scc1 .LBB1_399
; %bb.396:                              ;   in Loop: Header=BB1_378 Depth=2
	v_mov_b32_e32 v15, 0
	s_mov_b64 s[0:1], 0
	v_mov_b32_e32 v16, 0
	s_mov_b64 s[20:21], 0
.LBB1_397:                              ;   Parent Loop BB1_263 Depth=1
                                        ;     Parent Loop BB1_378 Depth=2
                                        ; =>    This Inner Loop Header: Depth=3
	s_add_u32 s24, s18, s20
	s_addc_u32 s25, s19, s21
	global_load_ubyte v1, v2, s[24:25]
	s_add_u32 s20, s20, 1
	s_addc_u32 s21, s21, 0
	s_waitcnt vmcnt(0)
	v_and_b32_e32 v1, 0xffff, v1
	v_lshlrev_b64 v[3:4], s0, v[1:2]
	s_add_u32 s0, s0, 8
	s_addc_u32 s1, s1, 0
	v_or_b32_e32 v15, v3, v15
	s_cmp_lg_u32 s23, s20
	v_or_b32_e32 v16, v4, v16
	s_cbranch_scc1 .LBB1_397
	s_branch .LBB1_400
.LBB1_398:                              ;   in Loop: Header=BB1_378 Depth=2
	s_mov_b32 s22, 0
	s_branch .LBB1_401
.LBB1_399:                              ;   in Loop: Header=BB1_378 Depth=2
	v_mov_b32_e32 v15, 0
	v_mov_b32_e32 v16, 0
.LBB1_400:                              ;   in Loop: Header=BB1_378 Depth=2
	s_mov_b64 s[0:1], s[18:19]
	s_mov_b32 s22, 0
	s_cbranch_execnz .LBB1_402
.LBB1_401:                              ;   in Loop: Header=BB1_378 Depth=2
	global_load_dwordx2 v[15:16], v2, s[18:19]
	s_add_i32 s22, s23, -8
.LBB1_402:                              ;   in Loop: Header=BB1_378 Depth=2
	s_add_u32 s18, s0, 8
	s_addc_u32 s19, s1, 0
	s_cmp_gt_u32 s22, 7
	s_cbranch_scc1 .LBB1_406
; %bb.403:                              ;   in Loop: Header=BB1_378 Depth=2
	s_cmp_eq_u32 s22, 0
	s_cbranch_scc1 .LBB1_407
; %bb.404:                              ;   in Loop: Header=BB1_378 Depth=2
	v_mov_b32_e32 v17, 0
	s_mov_b64 s[18:19], 0
	v_mov_b32_e32 v18, 0
	s_mov_b64 s[20:21], 0
.LBB1_405:                              ;   Parent Loop BB1_263 Depth=1
                                        ;     Parent Loop BB1_378 Depth=2
                                        ; =>    This Inner Loop Header: Depth=3
	s_add_u32 s24, s0, s20
	s_addc_u32 s25, s1, s21
	global_load_ubyte v1, v2, s[24:25]
	s_add_u32 s20, s20, 1
	s_addc_u32 s21, s21, 0
	s_waitcnt vmcnt(0)
	v_and_b32_e32 v1, 0xffff, v1
	v_lshlrev_b64 v[3:4], s18, v[1:2]
	s_add_u32 s18, s18, 8
	s_addc_u32 s19, s19, 0
	v_or_b32_e32 v17, v3, v17
	s_cmp_lg_u32 s22, s20
	v_or_b32_e32 v18, v4, v18
	s_cbranch_scc1 .LBB1_405
	s_branch .LBB1_408
.LBB1_406:                              ;   in Loop: Header=BB1_378 Depth=2
                                        ; implicit-def: $vgpr17_vgpr18
	s_mov_b32 s23, 0
	s_branch .LBB1_409
.LBB1_407:                              ;   in Loop: Header=BB1_378 Depth=2
	v_mov_b32_e32 v17, 0
	v_mov_b32_e32 v18, 0
.LBB1_408:                              ;   in Loop: Header=BB1_378 Depth=2
	s_mov_b64 s[18:19], s[0:1]
	s_mov_b32 s23, 0
	s_cbranch_execnz .LBB1_410
.LBB1_409:                              ;   in Loop: Header=BB1_378 Depth=2
	global_load_dwordx2 v[17:18], v2, s[0:1]
	s_add_i32 s23, s22, -8
.LBB1_410:                              ;   in Loop: Header=BB1_378 Depth=2
	s_add_u32 s0, s18, 8
	s_addc_u32 s1, s19, 0
	s_cmp_gt_u32 s23, 7
	s_cbranch_scc1 .LBB1_414
; %bb.411:                              ;   in Loop: Header=BB1_378 Depth=2
	s_cmp_eq_u32 s23, 0
	s_cbranch_scc1 .LBB1_415
; %bb.412:                              ;   in Loop: Header=BB1_378 Depth=2
	v_mov_b32_e32 v19, 0
	s_mov_b64 s[0:1], 0
	v_mov_b32_e32 v20, 0
	s_mov_b64 s[20:21], 0
.LBB1_413:                              ;   Parent Loop BB1_263 Depth=1
                                        ;     Parent Loop BB1_378 Depth=2
                                        ; =>    This Inner Loop Header: Depth=3
	s_add_u32 s24, s18, s20
	s_addc_u32 s25, s19, s21
	global_load_ubyte v1, v2, s[24:25]
	s_add_u32 s20, s20, 1
	s_addc_u32 s21, s21, 0
	s_waitcnt vmcnt(0)
	v_and_b32_e32 v1, 0xffff, v1
	v_lshlrev_b64 v[3:4], s0, v[1:2]
	s_add_u32 s0, s0, 8
	s_addc_u32 s1, s1, 0
	v_or_b32_e32 v19, v3, v19
	s_cmp_lg_u32 s23, s20
	v_or_b32_e32 v20, v4, v20
	s_cbranch_scc1 .LBB1_413
	s_branch .LBB1_416
.LBB1_414:                              ;   in Loop: Header=BB1_378 Depth=2
	s_mov_b32 s22, 0
	s_branch .LBB1_417
.LBB1_415:                              ;   in Loop: Header=BB1_378 Depth=2
	v_mov_b32_e32 v19, 0
	v_mov_b32_e32 v20, 0
.LBB1_416:                              ;   in Loop: Header=BB1_378 Depth=2
	s_mov_b64 s[0:1], s[18:19]
	s_mov_b32 s22, 0
	s_cbranch_execnz .LBB1_418
.LBB1_417:                              ;   in Loop: Header=BB1_378 Depth=2
	global_load_dwordx2 v[19:20], v2, s[18:19]
	s_add_i32 s22, s23, -8
.LBB1_418:                              ;   in Loop: Header=BB1_378 Depth=2
	s_add_u32 s18, s0, 8
	s_addc_u32 s19, s1, 0
	s_cmp_gt_u32 s22, 7
	s_cbranch_scc1 .LBB1_422
; %bb.419:                              ;   in Loop: Header=BB1_378 Depth=2
	s_cmp_eq_u32 s22, 0
	s_cbranch_scc1 .LBB1_423
; %bb.420:                              ;   in Loop: Header=BB1_378 Depth=2
	v_mov_b32_e32 v21, 0
	s_mov_b64 s[18:19], 0
	v_mov_b32_e32 v22, 0
	s_mov_b64 s[20:21], 0
.LBB1_421:                              ;   Parent Loop BB1_263 Depth=1
                                        ;     Parent Loop BB1_378 Depth=2
                                        ; =>    This Inner Loop Header: Depth=3
	s_add_u32 s24, s0, s20
	s_addc_u32 s25, s1, s21
	global_load_ubyte v1, v2, s[24:25]
	s_add_u32 s20, s20, 1
	s_addc_u32 s21, s21, 0
	s_waitcnt vmcnt(0)
	v_and_b32_e32 v1, 0xffff, v1
	v_lshlrev_b64 v[3:4], s18, v[1:2]
	s_add_u32 s18, s18, 8
	s_addc_u32 s19, s19, 0
	v_or_b32_e32 v21, v3, v21
	s_cmp_lg_u32 s22, s20
	v_or_b32_e32 v22, v4, v22
	s_cbranch_scc1 .LBB1_421
	s_branch .LBB1_424
.LBB1_422:                              ;   in Loop: Header=BB1_378 Depth=2
                                        ; implicit-def: $vgpr21_vgpr22
	s_mov_b32 s23, 0
	s_branch .LBB1_425
.LBB1_423:                              ;   in Loop: Header=BB1_378 Depth=2
	v_mov_b32_e32 v21, 0
	v_mov_b32_e32 v22, 0
.LBB1_424:                              ;   in Loop: Header=BB1_378 Depth=2
	s_mov_b64 s[18:19], s[0:1]
	s_mov_b32 s23, 0
	s_cbranch_execnz .LBB1_426
.LBB1_425:                              ;   in Loop: Header=BB1_378 Depth=2
	global_load_dwordx2 v[21:22], v2, s[0:1]
	s_add_i32 s23, s22, -8
.LBB1_426:                              ;   in Loop: Header=BB1_378 Depth=2
	s_cmp_gt_u32 s23, 7
	s_cbranch_scc1 .LBB1_430
; %bb.427:                              ;   in Loop: Header=BB1_378 Depth=2
	s_cmp_eq_u32 s23, 0
	s_cbranch_scc1 .LBB1_431
; %bb.428:                              ;   in Loop: Header=BB1_378 Depth=2
	v_mov_b32_e32 v23, 0
	s_mov_b64 s[0:1], 0
	v_mov_b32_e32 v24, 0
	s_mov_b64 s[20:21], s[18:19]
.LBB1_429:                              ;   Parent Loop BB1_263 Depth=1
                                        ;     Parent Loop BB1_378 Depth=2
                                        ; =>    This Inner Loop Header: Depth=3
	global_load_ubyte v1, v2, s[20:21]
	s_add_i32 s23, s23, -1
	s_waitcnt vmcnt(0)
	v_and_b32_e32 v1, 0xffff, v1
	v_lshlrev_b64 v[3:4], s0, v[1:2]
	s_add_u32 s0, s0, 8
	s_addc_u32 s1, s1, 0
	s_add_u32 s20, s20, 1
	s_addc_u32 s21, s21, 0
	v_or_b32_e32 v23, v3, v23
	s_cmp_lg_u32 s23, 0
	v_or_b32_e32 v24, v4, v24
	s_cbranch_scc1 .LBB1_429
	s_branch .LBB1_432
.LBB1_430:                              ;   in Loop: Header=BB1_378 Depth=2
	s_branch .LBB1_433
.LBB1_431:                              ;   in Loop: Header=BB1_378 Depth=2
	v_mov_b32_e32 v23, 0
	v_mov_b32_e32 v24, 0
.LBB1_432:                              ;   in Loop: Header=BB1_378 Depth=2
	s_cbranch_execnz .LBB1_434
.LBB1_433:                              ;   in Loop: Header=BB1_378 Depth=2
	global_load_dwordx2 v[23:24], v2, s[18:19]
.LBB1_434:                              ;   in Loop: Header=BB1_378 Depth=2
	v_readfirstlane_b32 s0, v31
	v_mov_b32_e32 v3, 0
	v_mov_b32_e32 v4, 0
	v_cmp_eq_u32_e64 s[0:1], s0, v31
	s_and_saveexec_b64 s[18:19], s[0:1]
	s_cbranch_execz .LBB1_440
; %bb.435:                              ;   in Loop: Header=BB1_378 Depth=2
	global_load_dwordx2 v[27:28], v2, s[2:3] offset:24 glc
	s_waitcnt vmcnt(0)
	buffer_wbinvl1_vol
	global_load_dwordx2 v[3:4], v2, s[2:3] offset:40
	global_load_dwordx2 v[25:26], v2, s[2:3]
	s_waitcnt vmcnt(1)
	v_and_b32_e32 v1, v3, v27
	v_and_b32_e32 v3, v4, v28
	v_mul_lo_u32 v3, v3, 24
	v_mul_hi_u32 v4, v1, 24
	v_mul_lo_u32 v1, v1, 24
	v_add_u32_e32 v4, v4, v3
	s_waitcnt vmcnt(0)
	v_add_co_u32_e32 v3, vcc, v25, v1
	v_addc_co_u32_e32 v4, vcc, v26, v4, vcc
	global_load_dwordx2 v[25:26], v[3:4], off glc
	s_waitcnt vmcnt(0)
	global_atomic_cmpswap_x2 v[3:4], v2, v[25:28], s[2:3] offset:24 glc
	s_waitcnt vmcnt(0)
	buffer_wbinvl1_vol
	v_cmp_ne_u64_e32 vcc, v[3:4], v[27:28]
	s_and_saveexec_b64 s[20:21], vcc
	s_cbranch_execz .LBB1_439
; %bb.436:                              ;   in Loop: Header=BB1_378 Depth=2
	s_mov_b64 s[22:23], 0
.LBB1_437:                              ;   Parent Loop BB1_263 Depth=1
                                        ;     Parent Loop BB1_378 Depth=2
                                        ; =>    This Inner Loop Header: Depth=3
	s_sleep 1
	global_load_dwordx2 v[25:26], v2, s[2:3] offset:40
	global_load_dwordx2 v[29:30], v2, s[2:3]
	v_mov_b32_e32 v28, v4
	v_mov_b32_e32 v27, v3
	s_waitcnt vmcnt(1)
	v_and_b32_e32 v1, v25, v27
	s_waitcnt vmcnt(0)
	v_mad_u64_u32 v[3:4], s[24:25], v1, 24, v[29:30]
	v_and_b32_e32 v25, v26, v28
	v_mov_b32_e32 v1, v4
	v_mad_u64_u32 v[25:26], s[24:25], v25, 24, v[1:2]
	v_mov_b32_e32 v4, v25
	global_load_dwordx2 v[25:26], v[3:4], off glc
	s_waitcnt vmcnt(0)
	global_atomic_cmpswap_x2 v[3:4], v2, v[25:28], s[2:3] offset:24 glc
	s_waitcnt vmcnt(0)
	buffer_wbinvl1_vol
	v_cmp_eq_u64_e32 vcc, v[3:4], v[27:28]
	s_or_b64 s[22:23], vcc, s[22:23]
	s_andn2_b64 exec, exec, s[22:23]
	s_cbranch_execnz .LBB1_437
; %bb.438:                              ;   in Loop: Header=BB1_378 Depth=2
	s_or_b64 exec, exec, s[22:23]
.LBB1_439:                              ;   in Loop: Header=BB1_378 Depth=2
	s_or_b64 exec, exec, s[20:21]
.LBB1_440:                              ;   in Loop: Header=BB1_378 Depth=2
	s_or_b64 exec, exec, s[18:19]
	global_load_dwordx2 v[29:30], v2, s[2:3] offset:40
	global_load_dwordx4 v[25:28], v2, s[2:3]
	v_readfirstlane_b32 s19, v4
	v_readfirstlane_b32 s18, v3
	s_mov_b64 s[20:21], exec
	s_waitcnt vmcnt(1)
	v_readfirstlane_b32 s22, v29
	v_readfirstlane_b32 s23, v30
	s_and_b64 s[22:23], s[22:23], s[18:19]
	s_mul_i32 s24, s23, 24
	s_mul_hi_u32 s25, s22, 24
	s_mul_i32 s29, s22, 24
	s_add_i32 s24, s25, s24
	v_mov_b32_e32 v1, s24
	s_waitcnt vmcnt(0)
	v_add_co_u32_e32 v29, vcc, s29, v25
	v_addc_co_u32_e32 v30, vcc, v26, v1, vcc
	s_and_saveexec_b64 s[24:25], s[0:1]
	s_cbranch_execz .LBB1_442
; %bb.441:                              ;   in Loop: Header=BB1_378 Depth=2
	v_mov_b32_e32 v3, s20
	v_mov_b32_e32 v4, s21
	global_store_dwordx4 v[29:30], v[3:6], off offset:8
.LBB1_442:                              ;   in Loop: Header=BB1_378 Depth=2
	s_or_b64 exec, exec, s[24:25]
	s_lshl_b64 s[20:21], s[22:23], 12
	v_cmp_gt_u64_e64 s[22:23], s[14:15], 56
	v_mov_b32_e32 v1, s21
	v_add_co_u32_e32 v27, vcc, s20, v27
	s_and_b64 s[20:21], s[22:23], exec
	s_cselect_b32 s20, 0, 2
	s_lshl_b32 s21, s16, 2
	v_addc_co_u32_e32 v28, vcc, v28, v1, vcc
	s_add_i32 s21, s21, 28
	v_and_b32_e32 v1, 0xffffff1f, v9
	s_and_b32 s21, s21, 0x1e0
	v_or_b32_e32 v1, s20, v1
	v_or_b32_e32 v9, s21, v1
	v_readfirstlane_b32 s20, v27
	v_readfirstlane_b32 s21, v28
	s_nop 4
	global_store_dwordx4 v32, v[9:12], s[20:21]
	global_store_dwordx4 v32, v[13:16], s[20:21] offset:16
	global_store_dwordx4 v32, v[17:20], s[20:21] offset:32
	;; [unrolled: 1-line block ×3, first 2 shown]
	s_and_saveexec_b64 s[20:21], s[0:1]
	s_cbranch_execz .LBB1_450
; %bb.443:                              ;   in Loop: Header=BB1_378 Depth=2
	global_load_dwordx2 v[13:14], v2, s[2:3] offset:32 glc
	global_load_dwordx2 v[3:4], v2, s[2:3] offset:40
	v_mov_b32_e32 v11, s18
	v_mov_b32_e32 v12, s19
	s_waitcnt vmcnt(0)
	v_readfirstlane_b32 s22, v3
	v_readfirstlane_b32 s23, v4
	s_and_b64 s[22:23], s[22:23], s[18:19]
	s_mul_i32 s23, s23, 24
	s_mul_hi_u32 s24, s22, 24
	s_mul_i32 s22, s22, 24
	s_add_i32 s23, s24, s23
	v_mov_b32_e32 v1, s23
	v_add_co_u32_e32 v3, vcc, s22, v25
	v_addc_co_u32_e32 v4, vcc, v26, v1, vcc
	global_store_dwordx2 v[3:4], v[13:14], off
	s_waitcnt vmcnt(0)
	global_atomic_cmpswap_x2 v[11:12], v2, v[11:14], s[2:3] offset:32 glc
	s_waitcnt vmcnt(0)
	v_cmp_ne_u64_e32 vcc, v[11:12], v[13:14]
	s_and_saveexec_b64 s[22:23], vcc
	s_cbranch_execz .LBB1_446
; %bb.444:                              ;   in Loop: Header=BB1_378 Depth=2
	s_mov_b64 s[24:25], 0
.LBB1_445:                              ;   Parent Loop BB1_263 Depth=1
                                        ;     Parent Loop BB1_378 Depth=2
                                        ; =>    This Inner Loop Header: Depth=3
	s_sleep 1
	global_store_dwordx2 v[3:4], v[11:12], off
	v_mov_b32_e32 v9, s18
	v_mov_b32_e32 v10, s19
	s_waitcnt vmcnt(0)
	global_atomic_cmpswap_x2 v[9:10], v2, v[9:12], s[2:3] offset:32 glc
	s_waitcnt vmcnt(0)
	v_cmp_eq_u64_e32 vcc, v[9:10], v[11:12]
	v_mov_b32_e32 v12, v10
	s_or_b64 s[24:25], vcc, s[24:25]
	v_mov_b32_e32 v11, v9
	s_andn2_b64 exec, exec, s[24:25]
	s_cbranch_execnz .LBB1_445
.LBB1_446:                              ;   in Loop: Header=BB1_378 Depth=2
	s_or_b64 exec, exec, s[22:23]
	global_load_dwordx2 v[3:4], v2, s[2:3] offset:16
	s_mov_b64 s[24:25], exec
	v_mbcnt_lo_u32_b32 v1, s24, 0
	v_mbcnt_hi_u32_b32 v1, s25, v1
	v_cmp_eq_u32_e32 vcc, 0, v1
	s_and_saveexec_b64 s[22:23], vcc
	s_cbranch_execz .LBB1_448
; %bb.447:                              ;   in Loop: Header=BB1_378 Depth=2
	s_bcnt1_i32_b64 s24, s[24:25]
	v_mov_b32_e32 v1, s24
	s_waitcnt vmcnt(0)
	global_atomic_add_x2 v[3:4], v[1:2], off offset:8
.LBB1_448:                              ;   in Loop: Header=BB1_378 Depth=2
	s_or_b64 exec, exec, s[22:23]
	s_waitcnt vmcnt(0)
	global_load_dwordx2 v[9:10], v[3:4], off offset:16
	s_waitcnt vmcnt(0)
	v_cmp_eq_u64_e32 vcc, 0, v[9:10]
	s_cbranch_vccnz .LBB1_450
; %bb.449:                              ;   in Loop: Header=BB1_378 Depth=2
	global_load_dword v1, v[3:4], off offset:24
	s_waitcnt vmcnt(0)
	v_readfirstlane_b32 s22, v1
	s_and_b32 m0, s22, 0xffffff
	global_store_dwordx2 v[9:10], v[1:2], off
	s_sendmsg sendmsg(MSG_INTERRUPT)
.LBB1_450:                              ;   in Loop: Header=BB1_378 Depth=2
	s_or_b64 exec, exec, s[20:21]
	v_add_co_u32_e32 v3, vcc, v27, v32
	v_addc_co_u32_e32 v4, vcc, 0, v28, vcc
	s_branch .LBB1_454
.LBB1_451:                              ;   in Loop: Header=BB1_454 Depth=3
	s_or_b64 exec, exec, s[20:21]
	v_readfirstlane_b32 s20, v1
	s_cmp_eq_u32 s20, 0
	s_cbranch_scc1 .LBB1_453
; %bb.452:                              ;   in Loop: Header=BB1_454 Depth=3
	s_sleep 1
	s_cbranch_execnz .LBB1_454
	s_branch .LBB1_456
.LBB1_453:                              ;   in Loop: Header=BB1_378 Depth=2
	s_branch .LBB1_456
.LBB1_454:                              ;   Parent Loop BB1_263 Depth=1
                                        ;     Parent Loop BB1_378 Depth=2
                                        ; =>    This Inner Loop Header: Depth=3
	v_mov_b32_e32 v1, 1
	s_and_saveexec_b64 s[20:21], s[0:1]
	s_cbranch_execz .LBB1_451
; %bb.455:                              ;   in Loop: Header=BB1_454 Depth=3
	global_load_dword v1, v[29:30], off offset:20 glc
	s_waitcnt vmcnt(0)
	buffer_wbinvl1_vol
	v_and_b32_e32 v1, 1, v1
	s_branch .LBB1_451
.LBB1_456:                              ;   in Loop: Header=BB1_378 Depth=2
	global_load_dwordx4 v[9:12], v[3:4], off
	s_and_saveexec_b64 s[20:21], s[0:1]
	s_cbranch_execz .LBB1_377
; %bb.457:                              ;   in Loop: Header=BB1_378 Depth=2
	global_load_dwordx2 v[3:4], v2, s[2:3] offset:40
	global_load_dwordx2 v[15:16], v2, s[2:3] offset:24 glc
	global_load_dwordx2 v[11:12], v2, s[2:3]
	s_waitcnt vmcnt(2)
	v_readfirstlane_b32 s22, v3
	v_readfirstlane_b32 s23, v4
	s_add_u32 s24, s22, 1
	s_addc_u32 s25, s23, 0
	s_add_u32 s0, s24, s18
	s_addc_u32 s1, s25, s19
	s_cmp_eq_u64 s[0:1], 0
	s_cselect_b32 s1, s25, s1
	s_cselect_b32 s0, s24, s0
	s_and_b64 s[18:19], s[0:1], s[22:23]
	s_mul_i32 s19, s19, 24
	s_mul_hi_u32 s22, s18, 24
	s_mul_i32 s18, s18, 24
	s_add_i32 s19, s22, s19
	v_mov_b32_e32 v1, s19
	s_waitcnt vmcnt(0)
	v_add_co_u32_e32 v3, vcc, s18, v11
	v_addc_co_u32_e32 v4, vcc, v12, v1, vcc
	v_mov_b32_e32 v13, s0
	global_store_dwordx2 v[3:4], v[15:16], off
	v_mov_b32_e32 v14, s1
	s_waitcnt vmcnt(0)
	global_atomic_cmpswap_x2 v[13:14], v2, v[13:16], s[2:3] offset:24 glc
	s_waitcnt vmcnt(0)
	v_cmp_ne_u64_e32 vcc, v[13:14], v[15:16]
	s_and_b64 exec, exec, vcc
	s_cbranch_execz .LBB1_377
; %bb.458:                              ;   in Loop: Header=BB1_378 Depth=2
	s_mov_b64 s[18:19], 0
.LBB1_459:                              ;   Parent Loop BB1_263 Depth=1
                                        ;     Parent Loop BB1_378 Depth=2
                                        ; =>    This Inner Loop Header: Depth=3
	s_sleep 1
	global_store_dwordx2 v[3:4], v[13:14], off
	v_mov_b32_e32 v11, s0
	v_mov_b32_e32 v12, s1
	s_waitcnt vmcnt(0)
	global_atomic_cmpswap_x2 v[11:12], v2, v[11:14], s[2:3] offset:24 glc
	s_waitcnt vmcnt(0)
	v_cmp_eq_u64_e32 vcc, v[11:12], v[13:14]
	v_mov_b32_e32 v14, v12
	s_or_b64 s[18:19], vcc, s[18:19]
	v_mov_b32_e32 v13, v11
	s_andn2_b64 exec, exec, s[18:19]
	s_cbranch_execnz .LBB1_459
	s_branch .LBB1_377
.LBB1_460:                              ;   in Loop: Header=BB1_263 Depth=1
	s_branch .LBB1_262
.LBB1_461:                              ;   in Loop: Header=BB1_263 Depth=1
                                        ; implicit-def: $vgpr7_vgpr8
	s_cbranch_execz .LBB1_375
; %bb.462:                              ;   in Loop: Header=BB1_263 Depth=1
	v_readfirstlane_b32 s0, v31
	v_mov_b32_e32 v3, 0
	v_mov_b32_e32 v4, 0
	v_cmp_eq_u32_e64 s[0:1], s0, v31
	s_and_saveexec_b64 s[12:13], s[0:1]
	s_cbranch_execz .LBB1_468
; %bb.463:                              ;   in Loop: Header=BB1_263 Depth=1
	global_load_dwordx2 v[9:10], v2, s[2:3] offset:24 glc
	s_waitcnt vmcnt(0)
	buffer_wbinvl1_vol
	global_load_dwordx2 v[3:4], v2, s[2:3] offset:40
	global_load_dwordx2 v[7:8], v2, s[2:3]
	s_waitcnt vmcnt(1)
	v_and_b32_e32 v1, v3, v9
	v_and_b32_e32 v3, v4, v10
	v_mul_lo_u32 v3, v3, 24
	v_mul_hi_u32 v4, v1, 24
	v_mul_lo_u32 v1, v1, 24
	v_add_u32_e32 v4, v4, v3
	s_waitcnt vmcnt(0)
	v_add_co_u32_e32 v3, vcc, v7, v1
	v_addc_co_u32_e32 v4, vcc, v8, v4, vcc
	global_load_dwordx2 v[7:8], v[3:4], off glc
	s_waitcnt vmcnt(0)
	global_atomic_cmpswap_x2 v[3:4], v2, v[7:10], s[2:3] offset:24 glc
	s_waitcnt vmcnt(0)
	buffer_wbinvl1_vol
	v_cmp_ne_u64_e32 vcc, v[3:4], v[9:10]
	s_and_saveexec_b64 s[14:15], vcc
	s_cbranch_execz .LBB1_467
; %bb.464:                              ;   in Loop: Header=BB1_263 Depth=1
	s_mov_b64 s[16:17], 0
.LBB1_465:                              ;   Parent Loop BB1_263 Depth=1
                                        ; =>  This Inner Loop Header: Depth=2
	s_sleep 1
	global_load_dwordx2 v[7:8], v2, s[2:3] offset:40
	global_load_dwordx2 v[13:14], v2, s[2:3]
	v_mov_b32_e32 v10, v4
	v_mov_b32_e32 v9, v3
	s_waitcnt vmcnt(1)
	v_and_b32_e32 v1, v7, v9
	s_waitcnt vmcnt(0)
	v_mad_u64_u32 v[3:4], s[18:19], v1, 24, v[13:14]
	v_and_b32_e32 v7, v8, v10
	v_mov_b32_e32 v1, v4
	v_mad_u64_u32 v[7:8], s[18:19], v7, 24, v[1:2]
	v_mov_b32_e32 v4, v7
	global_load_dwordx2 v[7:8], v[3:4], off glc
	s_waitcnt vmcnt(0)
	global_atomic_cmpswap_x2 v[3:4], v2, v[7:10], s[2:3] offset:24 glc
	s_waitcnt vmcnt(0)
	buffer_wbinvl1_vol
	v_cmp_eq_u64_e32 vcc, v[3:4], v[9:10]
	s_or_b64 s[16:17], vcc, s[16:17]
	s_andn2_b64 exec, exec, s[16:17]
	s_cbranch_execnz .LBB1_465
; %bb.466:                              ;   in Loop: Header=BB1_263 Depth=1
	s_or_b64 exec, exec, s[16:17]
.LBB1_467:                              ;   in Loop: Header=BB1_263 Depth=1
	s_or_b64 exec, exec, s[14:15]
.LBB1_468:                              ;   in Loop: Header=BB1_263 Depth=1
	s_or_b64 exec, exec, s[12:13]
	global_load_dwordx2 v[13:14], v2, s[2:3] offset:40
	global_load_dwordx4 v[7:10], v2, s[2:3]
	v_readfirstlane_b32 s13, v4
	v_readfirstlane_b32 s12, v3
	s_mov_b64 s[14:15], exec
	s_waitcnt vmcnt(1)
	v_readfirstlane_b32 s16, v13
	v_readfirstlane_b32 s17, v14
	s_and_b64 s[16:17], s[16:17], s[12:13]
	s_mul_i32 s18, s17, 24
	s_mul_hi_u32 s19, s16, 24
	s_mul_i32 s20, s16, 24
	s_add_i32 s18, s19, s18
	v_mov_b32_e32 v1, s18
	s_waitcnt vmcnt(0)
	v_add_co_u32_e32 v15, vcc, s20, v7
	v_addc_co_u32_e32 v16, vcc, v8, v1, vcc
	s_and_saveexec_b64 s[18:19], s[0:1]
	s_cbranch_execz .LBB1_470
; %bb.469:                              ;   in Loop: Header=BB1_263 Depth=1
	v_mov_b32_e32 v3, s14
	v_mov_b32_e32 v4, s15
	global_store_dwordx4 v[15:16], v[3:6], off offset:8
.LBB1_470:                              ;   in Loop: Header=BB1_263 Depth=1
	s_or_b64 exec, exec, s[18:19]
	s_lshl_b64 s[14:15], s[16:17], 12
	v_mov_b32_e32 v1, s15
	v_add_co_u32_e32 v17, vcc, s14, v9
	v_addc_co_u32_e32 v18, vcc, v10, v1, vcc
	v_and_or_b32 v11, v11, s26, 32
	v_mov_b32_e32 v13, v2
	v_mov_b32_e32 v14, v2
	v_readfirstlane_b32 s14, v17
	v_readfirstlane_b32 s15, v18
	s_nop 4
	global_store_dwordx4 v32, v[11:14], s[14:15]
	s_nop 0
	v_mov_b32_e32 v12, s7
	v_mov_b32_e32 v11, s6
	;; [unrolled: 1-line block ×4, first 2 shown]
	global_store_dwordx4 v32, v[9:12], s[14:15] offset:16
	global_store_dwordx4 v32, v[9:12], s[14:15] offset:32
	;; [unrolled: 1-line block ×3, first 2 shown]
	s_and_saveexec_b64 s[14:15], s[0:1]
	s_cbranch_execz .LBB1_478
; %bb.471:                              ;   in Loop: Header=BB1_263 Depth=1
	global_load_dwordx2 v[11:12], v2, s[2:3] offset:32 glc
	global_load_dwordx2 v[3:4], v2, s[2:3] offset:40
	v_mov_b32_e32 v9, s12
	v_mov_b32_e32 v10, s13
	s_waitcnt vmcnt(0)
	v_readfirstlane_b32 s16, v3
	v_readfirstlane_b32 s17, v4
	s_and_b64 s[16:17], s[16:17], s[12:13]
	s_mul_i32 s17, s17, 24
	s_mul_hi_u32 s18, s16, 24
	s_mul_i32 s16, s16, 24
	s_add_i32 s17, s18, s17
	v_mov_b32_e32 v1, s17
	v_add_co_u32_e32 v3, vcc, s16, v7
	v_addc_co_u32_e32 v4, vcc, v8, v1, vcc
	global_store_dwordx2 v[3:4], v[11:12], off
	s_waitcnt vmcnt(0)
	global_atomic_cmpswap_x2 v[9:10], v2, v[9:12], s[2:3] offset:32 glc
	s_waitcnt vmcnt(0)
	v_cmp_ne_u64_e32 vcc, v[9:10], v[11:12]
	s_and_saveexec_b64 s[16:17], vcc
	s_cbranch_execz .LBB1_474
; %bb.472:                              ;   in Loop: Header=BB1_263 Depth=1
	s_mov_b64 s[18:19], 0
.LBB1_473:                              ;   Parent Loop BB1_263 Depth=1
                                        ; =>  This Inner Loop Header: Depth=2
	s_sleep 1
	global_store_dwordx2 v[3:4], v[9:10], off
	v_mov_b32_e32 v7, s12
	v_mov_b32_e32 v8, s13
	s_waitcnt vmcnt(0)
	global_atomic_cmpswap_x2 v[7:8], v2, v[7:10], s[2:3] offset:32 glc
	s_waitcnt vmcnt(0)
	v_cmp_eq_u64_e32 vcc, v[7:8], v[9:10]
	v_mov_b32_e32 v10, v8
	s_or_b64 s[18:19], vcc, s[18:19]
	v_mov_b32_e32 v9, v7
	s_andn2_b64 exec, exec, s[18:19]
	s_cbranch_execnz .LBB1_473
.LBB1_474:                              ;   in Loop: Header=BB1_263 Depth=1
	s_or_b64 exec, exec, s[16:17]
	global_load_dwordx2 v[3:4], v2, s[2:3] offset:16
	s_mov_b64 s[18:19], exec
	v_mbcnt_lo_u32_b32 v1, s18, 0
	v_mbcnt_hi_u32_b32 v1, s19, v1
	v_cmp_eq_u32_e32 vcc, 0, v1
	s_and_saveexec_b64 s[16:17], vcc
	s_cbranch_execz .LBB1_476
; %bb.475:                              ;   in Loop: Header=BB1_263 Depth=1
	s_bcnt1_i32_b64 s18, s[18:19]
	v_mov_b32_e32 v1, s18
	s_waitcnt vmcnt(0)
	global_atomic_add_x2 v[3:4], v[1:2], off offset:8
.LBB1_476:                              ;   in Loop: Header=BB1_263 Depth=1
	s_or_b64 exec, exec, s[16:17]
	s_waitcnt vmcnt(0)
	global_load_dwordx2 v[7:8], v[3:4], off offset:16
	s_waitcnt vmcnt(0)
	v_cmp_eq_u64_e32 vcc, 0, v[7:8]
	s_cbranch_vccnz .LBB1_478
; %bb.477:                              ;   in Loop: Header=BB1_263 Depth=1
	global_load_dword v1, v[3:4], off offset:24
	s_waitcnt vmcnt(0)
	v_readfirstlane_b32 s16, v1
	s_and_b32 m0, s16, 0xffffff
	global_store_dwordx2 v[7:8], v[1:2], off
	s_sendmsg sendmsg(MSG_INTERRUPT)
.LBB1_478:                              ;   in Loop: Header=BB1_263 Depth=1
	s_or_b64 exec, exec, s[14:15]
	v_add_co_u32_e32 v3, vcc, v17, v32
	v_addc_co_u32_e32 v4, vcc, 0, v18, vcc
	s_branch .LBB1_482
.LBB1_479:                              ;   in Loop: Header=BB1_482 Depth=2
	s_or_b64 exec, exec, s[14:15]
	v_readfirstlane_b32 s14, v1
	s_cmp_eq_u32 s14, 0
	s_cbranch_scc1 .LBB1_481
; %bb.480:                              ;   in Loop: Header=BB1_482 Depth=2
	s_sleep 1
	s_cbranch_execnz .LBB1_482
	s_branch .LBB1_484
.LBB1_481:                              ;   in Loop: Header=BB1_263 Depth=1
	s_branch .LBB1_484
.LBB1_482:                              ;   Parent Loop BB1_263 Depth=1
                                        ; =>  This Inner Loop Header: Depth=2
	v_mov_b32_e32 v1, 1
	s_and_saveexec_b64 s[14:15], s[0:1]
	s_cbranch_execz .LBB1_479
; %bb.483:                              ;   in Loop: Header=BB1_482 Depth=2
	global_load_dword v1, v[15:16], off offset:20 glc
	s_waitcnt vmcnt(0)
	buffer_wbinvl1_vol
	v_and_b32_e32 v1, 1, v1
	s_branch .LBB1_479
.LBB1_484:                              ;   in Loop: Header=BB1_263 Depth=1
	global_load_dwordx2 v[7:8], v[3:4], off
	s_and_saveexec_b64 s[14:15], s[0:1]
	s_cbranch_execz .LBB1_488
; %bb.485:                              ;   in Loop: Header=BB1_263 Depth=1
	global_load_dwordx2 v[3:4], v2, s[2:3] offset:40
	global_load_dwordx2 v[13:14], v2, s[2:3] offset:24 glc
	global_load_dwordx2 v[9:10], v2, s[2:3]
	s_waitcnt vmcnt(2)
	v_readfirstlane_b32 s16, v3
	v_readfirstlane_b32 s17, v4
	s_add_u32 s18, s16, 1
	s_addc_u32 s19, s17, 0
	s_add_u32 s0, s18, s12
	s_addc_u32 s1, s19, s13
	s_cmp_eq_u64 s[0:1], 0
	s_cselect_b32 s1, s19, s1
	s_cselect_b32 s0, s18, s0
	s_and_b64 s[12:13], s[0:1], s[16:17]
	s_mul_i32 s13, s13, 24
	s_mul_hi_u32 s16, s12, 24
	s_mul_i32 s12, s12, 24
	s_add_i32 s13, s16, s13
	v_mov_b32_e32 v1, s13
	s_waitcnt vmcnt(0)
	v_add_co_u32_e32 v3, vcc, s12, v9
	v_addc_co_u32_e32 v4, vcc, v10, v1, vcc
	v_mov_b32_e32 v11, s0
	global_store_dwordx2 v[3:4], v[13:14], off
	v_mov_b32_e32 v12, s1
	s_waitcnt vmcnt(0)
	global_atomic_cmpswap_x2 v[11:12], v2, v[11:14], s[2:3] offset:24 glc
	s_waitcnt vmcnt(0)
	v_cmp_ne_u64_e32 vcc, v[11:12], v[13:14]
	s_and_b64 exec, exec, vcc
	s_cbranch_execz .LBB1_488
; %bb.486:                              ;   in Loop: Header=BB1_263 Depth=1
	s_mov_b64 s[12:13], 0
.LBB1_487:                              ;   Parent Loop BB1_263 Depth=1
                                        ; =>  This Inner Loop Header: Depth=2
	s_sleep 1
	global_store_dwordx2 v[3:4], v[11:12], off
	v_mov_b32_e32 v9, s0
	v_mov_b32_e32 v10, s1
	s_waitcnt vmcnt(0)
	global_atomic_cmpswap_x2 v[9:10], v2, v[9:12], s[2:3] offset:24 glc
	s_waitcnt vmcnt(0)
	v_cmp_eq_u64_e32 vcc, v[9:10], v[11:12]
	v_mov_b32_e32 v12, v10
	s_or_b64 s[12:13], vcc, s[12:13]
	v_mov_b32_e32 v11, v9
	s_andn2_b64 exec, exec, s[12:13]
	s_cbranch_execnz .LBB1_487
.LBB1_488:                              ;   in Loop: Header=BB1_263 Depth=1
	s_or_b64 exec, exec, s[14:15]
	s_and_b64 vcc, exec, s[10:11]
	s_cbranch_vccnz .LBB1_376
.LBB1_489:                              ;   in Loop: Header=BB1_263 Depth=1
	s_cbranch_execz .LBB1_262
; %bb.490:                              ;   in Loop: Header=BB1_263 Depth=1
	v_readfirstlane_b32 s0, v31
	v_mov_b32_e32 v3, 0
	v_mov_b32_e32 v4, 0
	v_cmp_eq_u32_e64 s[0:1], s0, v31
	s_and_saveexec_b64 s[12:13], s[0:1]
	s_cbranch_execz .LBB1_496
; %bb.491:                              ;   in Loop: Header=BB1_263 Depth=1
	global_load_dwordx2 v[11:12], v2, s[2:3] offset:24 glc
	s_waitcnt vmcnt(0)
	buffer_wbinvl1_vol
	global_load_dwordx2 v[3:4], v2, s[2:3] offset:40
	global_load_dwordx2 v[9:10], v2, s[2:3]
	s_waitcnt vmcnt(1)
	v_and_b32_e32 v1, v3, v11
	v_and_b32_e32 v3, v4, v12
	v_mul_lo_u32 v3, v3, 24
	v_mul_hi_u32 v4, v1, 24
	v_mul_lo_u32 v1, v1, 24
	v_add_u32_e32 v4, v4, v3
	s_waitcnt vmcnt(0)
	v_add_co_u32_e32 v3, vcc, v9, v1
	v_addc_co_u32_e32 v4, vcc, v10, v4, vcc
	global_load_dwordx2 v[9:10], v[3:4], off glc
	s_waitcnt vmcnt(0)
	global_atomic_cmpswap_x2 v[3:4], v2, v[9:12], s[2:3] offset:24 glc
	s_waitcnt vmcnt(0)
	buffer_wbinvl1_vol
	v_cmp_ne_u64_e32 vcc, v[3:4], v[11:12]
	s_and_saveexec_b64 s[14:15], vcc
	s_cbranch_execz .LBB1_495
; %bb.492:                              ;   in Loop: Header=BB1_263 Depth=1
	s_mov_b64 s[16:17], 0
.LBB1_493:                              ;   Parent Loop BB1_263 Depth=1
                                        ; =>  This Inner Loop Header: Depth=2
	s_sleep 1
	global_load_dwordx2 v[9:10], v2, s[2:3] offset:40
	global_load_dwordx2 v[13:14], v2, s[2:3]
	v_mov_b32_e32 v12, v4
	v_mov_b32_e32 v11, v3
	s_waitcnt vmcnt(1)
	v_and_b32_e32 v1, v9, v11
	s_waitcnt vmcnt(0)
	v_mad_u64_u32 v[3:4], s[18:19], v1, 24, v[13:14]
	v_and_b32_e32 v9, v10, v12
	v_mov_b32_e32 v1, v4
	v_mad_u64_u32 v[9:10], s[18:19], v9, 24, v[1:2]
	v_mov_b32_e32 v4, v9
	global_load_dwordx2 v[9:10], v[3:4], off glc
	s_waitcnt vmcnt(0)
	global_atomic_cmpswap_x2 v[3:4], v2, v[9:12], s[2:3] offset:24 glc
	s_waitcnt vmcnt(0)
	buffer_wbinvl1_vol
	v_cmp_eq_u64_e32 vcc, v[3:4], v[11:12]
	s_or_b64 s[16:17], vcc, s[16:17]
	s_andn2_b64 exec, exec, s[16:17]
	s_cbranch_execnz .LBB1_493
; %bb.494:                              ;   in Loop: Header=BB1_263 Depth=1
	s_or_b64 exec, exec, s[16:17]
.LBB1_495:                              ;   in Loop: Header=BB1_263 Depth=1
	s_or_b64 exec, exec, s[14:15]
.LBB1_496:                              ;   in Loop: Header=BB1_263 Depth=1
	s_or_b64 exec, exec, s[12:13]
	global_load_dwordx2 v[9:10], v2, s[2:3] offset:40
	global_load_dwordx4 v[11:14], v2, s[2:3]
	v_readfirstlane_b32 s13, v4
	v_readfirstlane_b32 s12, v3
	s_mov_b64 s[14:15], exec
	s_waitcnt vmcnt(1)
	v_readfirstlane_b32 s16, v9
	v_readfirstlane_b32 s17, v10
	s_and_b64 s[16:17], s[16:17], s[12:13]
	s_mul_i32 s18, s17, 24
	s_mul_hi_u32 s19, s16, 24
	s_mul_i32 s20, s16, 24
	s_add_i32 s18, s19, s18
	v_mov_b32_e32 v1, s18
	s_waitcnt vmcnt(0)
	v_add_co_u32_e32 v15, vcc, s20, v11
	v_addc_co_u32_e32 v16, vcc, v12, v1, vcc
	s_and_saveexec_b64 s[18:19], s[0:1]
	s_cbranch_execz .LBB1_498
; %bb.497:                              ;   in Loop: Header=BB1_263 Depth=1
	v_mov_b32_e32 v3, s14
	v_mov_b32_e32 v4, s15
	global_store_dwordx4 v[15:16], v[3:6], off offset:8
.LBB1_498:                              ;   in Loop: Header=BB1_263 Depth=1
	s_or_b64 exec, exec, s[18:19]
	s_lshl_b64 s[14:15], s[16:17], 12
	v_mov_b32_e32 v1, s15
	v_add_co_u32_e32 v3, vcc, s14, v13
	v_addc_co_u32_e32 v1, vcc, v14, v1, vcc
	v_and_or_b32 v7, v7, s27, 34
	v_mov_b32_e32 v9, v2
	v_mov_b32_e32 v10, v2
	v_readfirstlane_b32 s14, v3
	v_readfirstlane_b32 s15, v1
	s_nop 4
	global_store_dwordx4 v32, v[7:10], s[14:15]
	s_nop 0
	v_mov_b32_e32 v10, s7
	v_mov_b32_e32 v9, s6
	;; [unrolled: 1-line block ×4, first 2 shown]
	global_store_dwordx4 v32, v[7:10], s[14:15] offset:16
	global_store_dwordx4 v32, v[7:10], s[14:15] offset:32
	;; [unrolled: 1-line block ×3, first 2 shown]
	s_and_saveexec_b64 s[14:15], s[0:1]
	s_cbranch_execz .LBB1_506
; %bb.499:                              ;   in Loop: Header=BB1_263 Depth=1
	global_load_dwordx2 v[19:20], v2, s[2:3] offset:32 glc
	global_load_dwordx2 v[3:4], v2, s[2:3] offset:40
	v_mov_b32_e32 v17, s12
	v_mov_b32_e32 v18, s13
	s_waitcnt vmcnt(0)
	v_readfirstlane_b32 s16, v3
	v_readfirstlane_b32 s17, v4
	s_and_b64 s[16:17], s[16:17], s[12:13]
	s_mul_i32 s17, s17, 24
	s_mul_hi_u32 s18, s16, 24
	s_mul_i32 s16, s16, 24
	s_add_i32 s17, s18, s17
	v_mov_b32_e32 v1, s17
	v_add_co_u32_e32 v3, vcc, s16, v11
	v_addc_co_u32_e32 v4, vcc, v12, v1, vcc
	global_store_dwordx2 v[3:4], v[19:20], off
	s_waitcnt vmcnt(0)
	global_atomic_cmpswap_x2 v[9:10], v2, v[17:20], s[2:3] offset:32 glc
	s_waitcnt vmcnt(0)
	v_cmp_ne_u64_e32 vcc, v[9:10], v[19:20]
	s_and_saveexec_b64 s[16:17], vcc
	s_cbranch_execz .LBB1_502
; %bb.500:                              ;   in Loop: Header=BB1_263 Depth=1
	s_mov_b64 s[18:19], 0
.LBB1_501:                              ;   Parent Loop BB1_263 Depth=1
                                        ; =>  This Inner Loop Header: Depth=2
	s_sleep 1
	global_store_dwordx2 v[3:4], v[9:10], off
	v_mov_b32_e32 v7, s12
	v_mov_b32_e32 v8, s13
	s_waitcnt vmcnt(0)
	global_atomic_cmpswap_x2 v[7:8], v2, v[7:10], s[2:3] offset:32 glc
	s_waitcnt vmcnt(0)
	v_cmp_eq_u64_e32 vcc, v[7:8], v[9:10]
	v_mov_b32_e32 v10, v8
	s_or_b64 s[18:19], vcc, s[18:19]
	v_mov_b32_e32 v9, v7
	s_andn2_b64 exec, exec, s[18:19]
	s_cbranch_execnz .LBB1_501
.LBB1_502:                              ;   in Loop: Header=BB1_263 Depth=1
	s_or_b64 exec, exec, s[16:17]
	global_load_dwordx2 v[3:4], v2, s[2:3] offset:16
	s_mov_b64 s[18:19], exec
	v_mbcnt_lo_u32_b32 v1, s18, 0
	v_mbcnt_hi_u32_b32 v1, s19, v1
	v_cmp_eq_u32_e32 vcc, 0, v1
	s_and_saveexec_b64 s[16:17], vcc
	s_cbranch_execz .LBB1_504
; %bb.503:                              ;   in Loop: Header=BB1_263 Depth=1
	s_bcnt1_i32_b64 s18, s[18:19]
	v_mov_b32_e32 v1, s18
	s_waitcnt vmcnt(0)
	global_atomic_add_x2 v[3:4], v[1:2], off offset:8
.LBB1_504:                              ;   in Loop: Header=BB1_263 Depth=1
	s_or_b64 exec, exec, s[16:17]
	s_waitcnt vmcnt(0)
	global_load_dwordx2 v[7:8], v[3:4], off offset:16
	s_waitcnt vmcnt(0)
	v_cmp_eq_u64_e32 vcc, 0, v[7:8]
	s_cbranch_vccnz .LBB1_506
; %bb.505:                              ;   in Loop: Header=BB1_263 Depth=1
	global_load_dword v1, v[3:4], off offset:24
	s_waitcnt vmcnt(0)
	v_readfirstlane_b32 s16, v1
	s_and_b32 m0, s16, 0xffffff
	global_store_dwordx2 v[7:8], v[1:2], off
	s_sendmsg sendmsg(MSG_INTERRUPT)
.LBB1_506:                              ;   in Loop: Header=BB1_263 Depth=1
	s_or_b64 exec, exec, s[14:15]
	s_branch .LBB1_510
.LBB1_507:                              ;   in Loop: Header=BB1_510 Depth=2
	s_or_b64 exec, exec, s[14:15]
	v_readfirstlane_b32 s14, v1
	s_cmp_eq_u32 s14, 0
	s_cbranch_scc1 .LBB1_509
; %bb.508:                              ;   in Loop: Header=BB1_510 Depth=2
	s_sleep 1
	s_cbranch_execnz .LBB1_510
	s_branch .LBB1_512
.LBB1_509:                              ;   in Loop: Header=BB1_263 Depth=1
	s_branch .LBB1_512
.LBB1_510:                              ;   Parent Loop BB1_263 Depth=1
                                        ; =>  This Inner Loop Header: Depth=2
	v_mov_b32_e32 v1, 1
	s_and_saveexec_b64 s[14:15], s[0:1]
	s_cbranch_execz .LBB1_507
; %bb.511:                              ;   in Loop: Header=BB1_510 Depth=2
	global_load_dword v1, v[15:16], off offset:20 glc
	s_waitcnt vmcnt(0)
	buffer_wbinvl1_vol
	v_and_b32_e32 v1, 1, v1
	s_branch .LBB1_507
.LBB1_512:                              ;   in Loop: Header=BB1_263 Depth=1
	s_and_saveexec_b64 s[14:15], s[0:1]
	s_cbranch_execz .LBB1_261
; %bb.513:                              ;   in Loop: Header=BB1_263 Depth=1
	global_load_dwordx2 v[3:4], v2, s[2:3] offset:40
	global_load_dwordx2 v[11:12], v2, s[2:3] offset:24 glc
	global_load_dwordx2 v[7:8], v2, s[2:3]
	s_waitcnt vmcnt(2)
	v_readfirstlane_b32 s16, v3
	v_readfirstlane_b32 s17, v4
	s_add_u32 s18, s16, 1
	s_addc_u32 s19, s17, 0
	s_add_u32 s0, s18, s12
	s_addc_u32 s1, s19, s13
	s_cmp_eq_u64 s[0:1], 0
	s_cselect_b32 s1, s19, s1
	s_cselect_b32 s0, s18, s0
	s_and_b64 s[12:13], s[0:1], s[16:17]
	s_mul_i32 s13, s13, 24
	s_mul_hi_u32 s16, s12, 24
	s_mul_i32 s12, s12, 24
	s_add_i32 s13, s16, s13
	v_mov_b32_e32 v1, s13
	s_waitcnt vmcnt(0)
	v_add_co_u32_e32 v3, vcc, s12, v7
	v_addc_co_u32_e32 v4, vcc, v8, v1, vcc
	v_mov_b32_e32 v9, s0
	global_store_dwordx2 v[3:4], v[11:12], off
	v_mov_b32_e32 v10, s1
	s_waitcnt vmcnt(0)
	global_atomic_cmpswap_x2 v[9:10], v2, v[9:12], s[2:3] offset:24 glc
	s_waitcnt vmcnt(0)
	v_cmp_ne_u64_e32 vcc, v[9:10], v[11:12]
	s_and_b64 exec, exec, vcc
	s_cbranch_execz .LBB1_261
; %bb.514:                              ;   in Loop: Header=BB1_263 Depth=1
	s_mov_b64 s[12:13], 0
.LBB1_515:                              ;   Parent Loop BB1_263 Depth=1
                                        ; =>  This Inner Loop Header: Depth=2
	s_sleep 1
	global_store_dwordx2 v[3:4], v[9:10], off
	v_mov_b32_e32 v7, s0
	v_mov_b32_e32 v8, s1
	s_waitcnt vmcnt(0)
	global_atomic_cmpswap_x2 v[7:8], v2, v[7:10], s[2:3] offset:24 glc
	s_waitcnt vmcnt(0)
	v_cmp_eq_u64_e32 vcc, v[7:8], v[9:10]
	v_mov_b32_e32 v10, v8
	s_or_b64 s[12:13], vcc, s[12:13]
	v_mov_b32_e32 v9, v7
	s_andn2_b64 exec, exec, s[12:13]
	s_cbranch_execnz .LBB1_515
	s_branch .LBB1_261
.LBB1_516:
	s_endpgm
	.section	.rodata,"a",@progbits
	.p2align	6, 0x0
	.amdhsa_kernel _ZN19hipPrintfStressTest32kernel_printf_two_conditionalstrEj
		.amdhsa_group_segment_fixed_size 0
		.amdhsa_private_segment_fixed_size 0
		.amdhsa_kernarg_size 264
		.amdhsa_user_sgpr_count 6
		.amdhsa_user_sgpr_private_segment_buffer 1
		.amdhsa_user_sgpr_dispatch_ptr 0
		.amdhsa_user_sgpr_queue_ptr 0
		.amdhsa_user_sgpr_kernarg_segment_ptr 1
		.amdhsa_user_sgpr_dispatch_id 0
		.amdhsa_user_sgpr_flat_scratch_init 0
		.amdhsa_user_sgpr_private_segment_size 0
		.amdhsa_uses_dynamic_stack 0
		.amdhsa_system_sgpr_private_segment_wavefront_offset 0
		.amdhsa_system_sgpr_workgroup_id_x 1
		.amdhsa_system_sgpr_workgroup_id_y 0
		.amdhsa_system_sgpr_workgroup_id_z 0
		.amdhsa_system_sgpr_workgroup_info 0
		.amdhsa_system_vgpr_workitem_id 0
		.amdhsa_next_free_vgpr 33
		.amdhsa_next_free_sgpr 38
		.amdhsa_reserve_vcc 1
		.amdhsa_reserve_flat_scratch 0
		.amdhsa_float_round_mode_32 0
		.amdhsa_float_round_mode_16_64 0
		.amdhsa_float_denorm_mode_32 3
		.amdhsa_float_denorm_mode_16_64 3
		.amdhsa_dx10_clamp 1
		.amdhsa_ieee_mode 1
		.amdhsa_fp16_overflow 0
		.amdhsa_exception_fp_ieee_invalid_op 0
		.amdhsa_exception_fp_denorm_src 0
		.amdhsa_exception_fp_ieee_div_zero 0
		.amdhsa_exception_fp_ieee_overflow 0
		.amdhsa_exception_fp_ieee_underflow 0
		.amdhsa_exception_fp_ieee_inexact 0
		.amdhsa_exception_int_div_zero 0
	.end_amdhsa_kernel
	.text
.Lfunc_end1:
	.size	_ZN19hipPrintfStressTest32kernel_printf_two_conditionalstrEj, .Lfunc_end1-_ZN19hipPrintfStressTest32kernel_printf_two_conditionalstrEj
                                        ; -- End function
	.set _ZN19hipPrintfStressTest32kernel_printf_two_conditionalstrEj.num_vgpr, 33
	.set _ZN19hipPrintfStressTest32kernel_printf_two_conditionalstrEj.num_agpr, 0
	.set _ZN19hipPrintfStressTest32kernel_printf_two_conditionalstrEj.numbered_sgpr, 38
	.set _ZN19hipPrintfStressTest32kernel_printf_two_conditionalstrEj.num_named_barrier, 0
	.set _ZN19hipPrintfStressTest32kernel_printf_two_conditionalstrEj.private_seg_size, 0
	.set _ZN19hipPrintfStressTest32kernel_printf_two_conditionalstrEj.uses_vcc, 1
	.set _ZN19hipPrintfStressTest32kernel_printf_two_conditionalstrEj.uses_flat_scratch, 0
	.set _ZN19hipPrintfStressTest32kernel_printf_two_conditionalstrEj.has_dyn_sized_stack, 0
	.set _ZN19hipPrintfStressTest32kernel_printf_two_conditionalstrEj.has_recursion, 0
	.set _ZN19hipPrintfStressTest32kernel_printf_two_conditionalstrEj.has_indirect_call, 0
	.section	.AMDGPU.csdata,"",@progbits
; Kernel info:
; codeLenInByte = 16132
; TotalNumSgprs: 42
; NumVgprs: 33
; ScratchSize: 0
; MemoryBound: 0
; FloatMode: 240
; IeeeMode: 1
; LDSByteSize: 0 bytes/workgroup (compile time only)
; SGPRBlocks: 5
; VGPRBlocks: 8
; NumSGPRsForWavesPerEU: 42
; NumVGPRsForWavesPerEU: 33
; Occupancy: 7
; WaveLimiterHint : 1
; COMPUTE_PGM_RSRC2:SCRATCH_EN: 0
; COMPUTE_PGM_RSRC2:USER_SGPR: 6
; COMPUTE_PGM_RSRC2:TRAP_HANDLER: 0
; COMPUTE_PGM_RSRC2:TGID_X_EN: 1
; COMPUTE_PGM_RSRC2:TGID_Y_EN: 0
; COMPUTE_PGM_RSRC2:TGID_Z_EN: 0
; COMPUTE_PGM_RSRC2:TIDIG_COMP_CNT: 0
	.text
	.protected	_ZN19hipPrintfStressTest35kernel_printf_single_conditionalstrEj ; -- Begin function _ZN19hipPrintfStressTest35kernel_printf_single_conditionalstrEj
	.globl	_ZN19hipPrintfStressTest35kernel_printf_single_conditionalstrEj
	.p2align	8
	.type	_ZN19hipPrintfStressTest35kernel_printf_single_conditionalstrEj,@function
_ZN19hipPrintfStressTest35kernel_printf_single_conditionalstrEj: ; @_ZN19hipPrintfStressTest35kernel_printf_single_conditionalstrEj
; %bb.0:
	s_load_dword s2, s[4:5], 0x14
	s_load_dword s26, s[4:5], 0x0
	s_add_u32 s0, s4, 8
	s_addc_u32 s1, s5, 0
	s_mov_b32 s4, 0
	s_waitcnt lgkmcnt(0)
	s_mul_i32 s6, s6, s2
	v_add_u32_e32 v0, s6, v0
	v_and_b32_e32 v0, 1, v0
	s_cmp_lg_u32 s26, 0
	v_cmp_eq_u32_e32 vcc, 0, v0
	s_cselect_b64 s[2:3], -1, 0
	s_and_b64 s[2:3], vcc, s[2:3]
	s_and_saveexec_b64 s[6:7], s[2:3]
	s_cbranch_execz .LBB2_257
; %bb.1:
	s_load_dwordx2 s[2:3], s[0:1], 0x50
	s_getpc_b64 s[0:1]
	s_add_u32 s0, s0, .str@rel32@lo+4
	s_addc_u32 s1, s1, .str@rel32@hi+12
	s_cmp_lg_u64 s[0:1], 0
	s_cselect_b64 s[8:9], -1, 0
	s_getpc_b64 s[0:1]
	s_add_u32 s0, s0, .str.2@rel32@lo+4
	s_addc_u32 s1, s1, .str.2@rel32@hi+12
	v_mbcnt_lo_u32_b32 v0, -1, 0
	s_cmp_lg_u64 s[0:1], 0
	v_mbcnt_hi_u32_b32 v31, -1, v0
	v_mov_b32_e32 v2, 0
	s_cselect_b64 s[10:11], -1, 0
	s_mov_b32 s5, s4
	s_mov_b32 s6, s4
	;; [unrolled: 1-line block ×3, first 2 shown]
	s_movk_i32 s27, 0xff1f
	s_movk_i32 s28, 0xff1d
	v_mov_b32_e32 v5, 2
	v_mov_b32_e32 v6, 1
	;; [unrolled: 1-line block ×3, first 2 shown]
	s_mov_b32 s29, s4
	s_branch .LBB2_4
.LBB2_2:                                ;   in Loop: Header=BB2_4 Depth=1
	s_or_b64 exec, exec, s[14:15]
.LBB2_3:                                ;   in Loop: Header=BB2_4 Depth=1
	s_add_i32 s29, s29, 1
	s_cmp_lg_u32 s29, s26
	s_cbranch_scc0 .LBB2_257
.LBB2_4:                                ; =>This Loop Header: Depth=1
                                        ;     Child Loop BB2_7 Depth 2
                                        ;     Child Loop BB2_15 Depth 2
	;; [unrolled: 1-line block ×9, first 2 shown]
                                        ;       Child Loop BB2_36 Depth 3
                                        ;       Child Loop BB2_44 Depth 3
	;; [unrolled: 1-line block ×11, first 2 shown]
                                        ;     Child Loop BB2_234 Depth 2
                                        ;     Child Loop BB2_242 Depth 2
	;; [unrolled: 1-line block ×5, first 2 shown]
                                        ;       Child Loop BB2_122 Depth 3
                                        ;       Child Loop BB2_130 Depth 3
	;; [unrolled: 1-line block ×11, first 2 shown]
	v_readfirstlane_b32 s0, v31
	v_mov_b32_e32 v3, 0
	v_mov_b32_e32 v4, 0
	v_cmp_eq_u32_e64 s[0:1], s0, v31
	s_and_saveexec_b64 s[12:13], s[0:1]
	s_cbranch_execz .LBB2_10
; %bb.5:                                ;   in Loop: Header=BB2_4 Depth=1
	s_waitcnt lgkmcnt(0)
	global_load_dwordx2 v[9:10], v2, s[2:3] offset:24 glc
	s_waitcnt vmcnt(0)
	buffer_wbinvl1_vol
	global_load_dwordx2 v[3:4], v2, s[2:3] offset:40
	global_load_dwordx2 v[7:8], v2, s[2:3]
	s_waitcnt vmcnt(1)
	v_and_b32_e32 v1, v3, v9
	v_and_b32_e32 v3, v4, v10
	v_mul_lo_u32 v3, v3, 24
	v_mul_hi_u32 v4, v1, 24
	v_mul_lo_u32 v1, v1, 24
	v_add_u32_e32 v4, v4, v3
	s_waitcnt vmcnt(0)
	v_add_co_u32_e32 v3, vcc, v7, v1
	v_addc_co_u32_e32 v4, vcc, v8, v4, vcc
	global_load_dwordx2 v[7:8], v[3:4], off glc
	s_waitcnt vmcnt(0)
	global_atomic_cmpswap_x2 v[3:4], v2, v[7:10], s[2:3] offset:24 glc
	s_waitcnt vmcnt(0)
	buffer_wbinvl1_vol
	v_cmp_ne_u64_e32 vcc, v[3:4], v[9:10]
	s_and_saveexec_b64 s[14:15], vcc
	s_cbranch_execz .LBB2_9
; %bb.6:                                ;   in Loop: Header=BB2_4 Depth=1
	s_mov_b64 s[16:17], 0
.LBB2_7:                                ;   Parent Loop BB2_4 Depth=1
                                        ; =>  This Inner Loop Header: Depth=2
	s_sleep 1
	global_load_dwordx2 v[7:8], v2, s[2:3] offset:40
	global_load_dwordx2 v[11:12], v2, s[2:3]
	v_mov_b32_e32 v10, v4
	v_mov_b32_e32 v9, v3
	s_waitcnt vmcnt(1)
	v_and_b32_e32 v1, v7, v9
	s_waitcnt vmcnt(0)
	v_mad_u64_u32 v[3:4], s[18:19], v1, 24, v[11:12]
	v_and_b32_e32 v7, v8, v10
	v_mov_b32_e32 v1, v4
	v_mad_u64_u32 v[7:8], s[18:19], v7, 24, v[1:2]
	v_mov_b32_e32 v4, v7
	global_load_dwordx2 v[7:8], v[3:4], off glc
	s_waitcnt vmcnt(0)
	global_atomic_cmpswap_x2 v[3:4], v2, v[7:10], s[2:3] offset:24 glc
	s_waitcnt vmcnt(0)
	buffer_wbinvl1_vol
	v_cmp_eq_u64_e32 vcc, v[3:4], v[9:10]
	s_or_b64 s[16:17], vcc, s[16:17]
	s_andn2_b64 exec, exec, s[16:17]
	s_cbranch_execnz .LBB2_7
; %bb.8:                                ;   in Loop: Header=BB2_4 Depth=1
	s_or_b64 exec, exec, s[16:17]
.LBB2_9:                                ;   in Loop: Header=BB2_4 Depth=1
	s_or_b64 exec, exec, s[14:15]
.LBB2_10:                               ;   in Loop: Header=BB2_4 Depth=1
	s_or_b64 exec, exec, s[12:13]
	s_waitcnt lgkmcnt(0)
	global_load_dwordx2 v[11:12], v2, s[2:3] offset:40
	global_load_dwordx4 v[7:10], v2, s[2:3]
	v_readfirstlane_b32 s13, v4
	v_readfirstlane_b32 s12, v3
	s_mov_b64 s[14:15], exec
	s_waitcnt vmcnt(1)
	v_readfirstlane_b32 s16, v11
	v_readfirstlane_b32 s17, v12
	s_and_b64 s[16:17], s[16:17], s[12:13]
	s_mul_i32 s18, s17, 24
	s_mul_hi_u32 s19, s16, 24
	s_mul_i32 s20, s16, 24
	s_add_i32 s18, s19, s18
	v_mov_b32_e32 v1, s18
	s_waitcnt vmcnt(0)
	v_add_co_u32_e32 v11, vcc, s20, v7
	v_addc_co_u32_e32 v12, vcc, v8, v1, vcc
	s_and_saveexec_b64 s[18:19], s[0:1]
	s_cbranch_execz .LBB2_12
; %bb.11:                               ;   in Loop: Header=BB2_4 Depth=1
	v_mov_b32_e32 v3, s14
	v_mov_b32_e32 v4, s15
	global_store_dwordx4 v[11:12], v[3:6], off offset:8
.LBB2_12:                               ;   in Loop: Header=BB2_4 Depth=1
	s_or_b64 exec, exec, s[18:19]
	s_lshl_b64 s[14:15], s[16:17], 12
	v_mov_b32_e32 v1, s15
	v_add_co_u32_e32 v13, vcc, s14, v9
	v_addc_co_u32_e32 v14, vcc, v10, v1, vcc
	v_mov_b32_e32 v18, s7
	v_lshlrev_b32_e32 v32, 6, v31
	v_mov_b32_e32 v1, v2
	v_mov_b32_e32 v3, v2
	v_readfirstlane_b32 s14, v13
	v_readfirstlane_b32 s15, v14
	v_mov_b32_e32 v17, s6
	v_mov_b32_e32 v16, s5
	;; [unrolled: 1-line block ×3, first 2 shown]
	s_nop 1
	global_store_dwordx4 v32, v[0:3], s[14:15]
	global_store_dwordx4 v32, v[15:18], s[14:15] offset:16
	global_store_dwordx4 v32, v[15:18], s[14:15] offset:32
	;; [unrolled: 1-line block ×3, first 2 shown]
	s_and_saveexec_b64 s[14:15], s[0:1]
	s_cbranch_execz .LBB2_20
; %bb.13:                               ;   in Loop: Header=BB2_4 Depth=1
	global_load_dwordx2 v[17:18], v2, s[2:3] offset:32 glc
	global_load_dwordx2 v[3:4], v2, s[2:3] offset:40
	v_mov_b32_e32 v15, s12
	v_mov_b32_e32 v16, s13
	s_waitcnt vmcnt(0)
	v_readfirstlane_b32 s16, v3
	v_readfirstlane_b32 s17, v4
	s_and_b64 s[16:17], s[16:17], s[12:13]
	s_mul_i32 s17, s17, 24
	s_mul_hi_u32 s18, s16, 24
	s_mul_i32 s16, s16, 24
	s_add_i32 s17, s18, s17
	v_mov_b32_e32 v1, s17
	v_add_co_u32_e32 v3, vcc, s16, v7
	v_addc_co_u32_e32 v4, vcc, v8, v1, vcc
	global_store_dwordx2 v[3:4], v[17:18], off
	s_waitcnt vmcnt(0)
	global_atomic_cmpswap_x2 v[9:10], v2, v[15:18], s[2:3] offset:32 glc
	s_waitcnt vmcnt(0)
	v_cmp_ne_u64_e32 vcc, v[9:10], v[17:18]
	s_and_saveexec_b64 s[16:17], vcc
	s_cbranch_execz .LBB2_16
; %bb.14:                               ;   in Loop: Header=BB2_4 Depth=1
	s_mov_b64 s[18:19], 0
.LBB2_15:                               ;   Parent Loop BB2_4 Depth=1
                                        ; =>  This Inner Loop Header: Depth=2
	s_sleep 1
	global_store_dwordx2 v[3:4], v[9:10], off
	v_mov_b32_e32 v7, s12
	v_mov_b32_e32 v8, s13
	s_waitcnt vmcnt(0)
	global_atomic_cmpswap_x2 v[7:8], v2, v[7:10], s[2:3] offset:32 glc
	s_waitcnt vmcnt(0)
	v_cmp_eq_u64_e32 vcc, v[7:8], v[9:10]
	v_mov_b32_e32 v10, v8
	s_or_b64 s[18:19], vcc, s[18:19]
	v_mov_b32_e32 v9, v7
	s_andn2_b64 exec, exec, s[18:19]
	s_cbranch_execnz .LBB2_15
.LBB2_16:                               ;   in Loop: Header=BB2_4 Depth=1
	s_or_b64 exec, exec, s[16:17]
	global_load_dwordx2 v[3:4], v2, s[2:3] offset:16
	s_mov_b64 s[18:19], exec
	v_mbcnt_lo_u32_b32 v1, s18, 0
	v_mbcnt_hi_u32_b32 v1, s19, v1
	v_cmp_eq_u32_e32 vcc, 0, v1
	s_and_saveexec_b64 s[16:17], vcc
	s_cbranch_execz .LBB2_18
; %bb.17:                               ;   in Loop: Header=BB2_4 Depth=1
	s_bcnt1_i32_b64 s18, s[18:19]
	v_mov_b32_e32 v1, s18
	s_waitcnt vmcnt(0)
	global_atomic_add_x2 v[3:4], v[1:2], off offset:8
.LBB2_18:                               ;   in Loop: Header=BB2_4 Depth=1
	s_or_b64 exec, exec, s[16:17]
	s_waitcnt vmcnt(0)
	global_load_dwordx2 v[7:8], v[3:4], off offset:16
	s_waitcnt vmcnt(0)
	v_cmp_eq_u64_e32 vcc, 0, v[7:8]
	s_cbranch_vccnz .LBB2_20
; %bb.19:                               ;   in Loop: Header=BB2_4 Depth=1
	global_load_dword v1, v[3:4], off offset:24
	s_waitcnt vmcnt(0)
	v_readfirstlane_b32 s16, v1
	s_and_b32 m0, s16, 0xffffff
	global_store_dwordx2 v[7:8], v[1:2], off
	s_sendmsg sendmsg(MSG_INTERRUPT)
.LBB2_20:                               ;   in Loop: Header=BB2_4 Depth=1
	s_or_b64 exec, exec, s[14:15]
	v_add_co_u32_e32 v3, vcc, v13, v32
	v_addc_co_u32_e32 v4, vcc, 0, v14, vcc
	s_branch .LBB2_24
.LBB2_21:                               ;   in Loop: Header=BB2_24 Depth=2
	s_or_b64 exec, exec, s[14:15]
	v_readfirstlane_b32 s14, v1
	s_cmp_eq_u32 s14, 0
	s_cbranch_scc1 .LBB2_23
; %bb.22:                               ;   in Loop: Header=BB2_24 Depth=2
	s_sleep 1
	s_cbranch_execnz .LBB2_24
	s_branch .LBB2_26
.LBB2_23:                               ;   in Loop: Header=BB2_4 Depth=1
	s_branch .LBB2_26
.LBB2_24:                               ;   Parent Loop BB2_4 Depth=1
                                        ; =>  This Inner Loop Header: Depth=2
	v_mov_b32_e32 v1, 1
	s_and_saveexec_b64 s[14:15], s[0:1]
	s_cbranch_execz .LBB2_21
; %bb.25:                               ;   in Loop: Header=BB2_24 Depth=2
	global_load_dword v1, v[11:12], off offset:20 glc
	s_waitcnt vmcnt(0)
	buffer_wbinvl1_vol
	v_and_b32_e32 v1, 1, v1
	s_branch .LBB2_21
.LBB2_26:                               ;   in Loop: Header=BB2_4 Depth=1
	global_load_dwordx2 v[11:12], v[3:4], off
	s_and_saveexec_b64 s[14:15], s[0:1]
	s_cbranch_execz .LBB2_30
; %bb.27:                               ;   in Loop: Header=BB2_4 Depth=1
	global_load_dwordx2 v[3:4], v2, s[2:3] offset:40
	global_load_dwordx2 v[15:16], v2, s[2:3] offset:24 glc
	global_load_dwordx2 v[7:8], v2, s[2:3]
	s_waitcnt vmcnt(2)
	v_readfirstlane_b32 s16, v3
	v_readfirstlane_b32 s17, v4
	s_add_u32 s18, s16, 1
	s_addc_u32 s19, s17, 0
	s_add_u32 s0, s18, s12
	s_addc_u32 s1, s19, s13
	s_cmp_eq_u64 s[0:1], 0
	s_cselect_b32 s1, s19, s1
	s_cselect_b32 s0, s18, s0
	s_and_b64 s[12:13], s[0:1], s[16:17]
	s_mul_i32 s13, s13, 24
	s_mul_hi_u32 s16, s12, 24
	s_mul_i32 s12, s12, 24
	s_add_i32 s13, s16, s13
	v_mov_b32_e32 v1, s13
	s_waitcnt vmcnt(0)
	v_add_co_u32_e32 v3, vcc, s12, v7
	v_addc_co_u32_e32 v4, vcc, v8, v1, vcc
	v_mov_b32_e32 v13, s0
	global_store_dwordx2 v[3:4], v[15:16], off
	v_mov_b32_e32 v14, s1
	s_waitcnt vmcnt(0)
	global_atomic_cmpswap_x2 v[9:10], v2, v[13:16], s[2:3] offset:24 glc
	s_waitcnt vmcnt(0)
	v_cmp_ne_u64_e32 vcc, v[9:10], v[15:16]
	s_and_b64 exec, exec, vcc
	s_cbranch_execz .LBB2_30
; %bb.28:                               ;   in Loop: Header=BB2_4 Depth=1
	s_mov_b64 s[12:13], 0
.LBB2_29:                               ;   Parent Loop BB2_4 Depth=1
                                        ; =>  This Inner Loop Header: Depth=2
	s_sleep 1
	global_store_dwordx2 v[3:4], v[9:10], off
	v_mov_b32_e32 v7, s0
	v_mov_b32_e32 v8, s1
	s_waitcnt vmcnt(0)
	global_atomic_cmpswap_x2 v[7:8], v2, v[7:10], s[2:3] offset:24 glc
	s_waitcnt vmcnt(0)
	v_cmp_eq_u64_e32 vcc, v[7:8], v[9:10]
	v_mov_b32_e32 v10, v8
	s_or_b64 s[12:13], vcc, s[12:13]
	v_mov_b32_e32 v9, v7
	s_andn2_b64 exec, exec, s[12:13]
	s_cbranch_execnz .LBB2_29
.LBB2_30:                               ;   in Loop: Header=BB2_4 Depth=1
	s_or_b64 exec, exec, s[14:15]
	s_and_b64 vcc, exec, s[8:9]
	s_cbranch_vccz .LBB2_202
; %bb.31:                               ;   in Loop: Header=BB2_4 Depth=1
	s_waitcnt vmcnt(0)
	v_and_b32_e32 v7, -3, v11
	v_mov_b32_e32 v8, v12
	s_mov_b64 s[14:15], 3
	s_getpc_b64 s[12:13]
	s_add_u32 s12, s12, .str@rel32@lo+4
	s_addc_u32 s13, s13, .str@rel32@hi+12
	s_branch .LBB2_33
.LBB2_32:                               ;   in Loop: Header=BB2_33 Depth=2
	s_or_b64 exec, exec, s[20:21]
	s_sub_u32 s14, s14, s16
	s_subb_u32 s15, s15, s17
	s_add_u32 s12, s12, s16
	s_addc_u32 s13, s13, s17
	s_cmp_lg_u64 s[14:15], 0
	s_cbranch_scc0 .LBB2_115
.LBB2_33:                               ;   Parent Loop BB2_4 Depth=1
                                        ; =>  This Loop Header: Depth=2
                                        ;       Child Loop BB2_36 Depth 3
                                        ;       Child Loop BB2_44 Depth 3
	;; [unrolled: 1-line block ×11, first 2 shown]
	v_cmp_lt_u64_e64 s[0:1], s[14:15], 56
	v_cmp_gt_u64_e64 s[18:19], s[14:15], 7
	s_and_b64 s[0:1], s[0:1], exec
	s_cselect_b32 s17, s15, 0
	s_cselect_b32 s16, s14, 56
	s_add_u32 s0, s12, 8
	s_addc_u32 s1, s13, 0
	s_and_b64 vcc, exec, s[18:19]
	s_cbranch_vccnz .LBB2_37
; %bb.34:                               ;   in Loop: Header=BB2_33 Depth=2
	s_cmp_eq_u64 s[14:15], 0
	s_cbranch_scc1 .LBB2_38
; %bb.35:                               ;   in Loop: Header=BB2_33 Depth=2
	v_mov_b32_e32 v9, 0
	s_lshl_b64 s[0:1], s[16:17], 3
	s_mov_b64 s[18:19], 0
	v_mov_b32_e32 v10, 0
	s_mov_b64 s[20:21], s[12:13]
.LBB2_36:                               ;   Parent Loop BB2_4 Depth=1
                                        ;     Parent Loop BB2_33 Depth=2
                                        ; =>    This Inner Loop Header: Depth=3
	global_load_ubyte v1, v2, s[20:21]
	s_waitcnt vmcnt(0)
	v_and_b32_e32 v1, 0xffff, v1
	v_lshlrev_b64 v[3:4], s18, v[1:2]
	s_add_u32 s18, s18, 8
	s_addc_u32 s19, s19, 0
	s_add_u32 s20, s20, 1
	s_addc_u32 s21, s21, 0
	v_or_b32_e32 v9, v3, v9
	s_cmp_lg_u32 s0, s18
	v_or_b32_e32 v10, v4, v10
	s_cbranch_scc1 .LBB2_36
	s_branch .LBB2_39
.LBB2_37:                               ;   in Loop: Header=BB2_33 Depth=2
	s_mov_b32 s22, 0
	s_branch .LBB2_40
.LBB2_38:                               ;   in Loop: Header=BB2_33 Depth=2
	v_mov_b32_e32 v9, 0
	v_mov_b32_e32 v10, 0
.LBB2_39:                               ;   in Loop: Header=BB2_33 Depth=2
	s_mov_b64 s[0:1], s[12:13]
	s_mov_b32 s22, 0
	s_cbranch_execnz .LBB2_41
.LBB2_40:                               ;   in Loop: Header=BB2_33 Depth=2
	global_load_dwordx2 v[9:10], v2, s[12:13]
	s_add_i32 s22, s16, -8
.LBB2_41:                               ;   in Loop: Header=BB2_33 Depth=2
	s_add_u32 s18, s0, 8
	s_addc_u32 s19, s1, 0
	s_cmp_gt_u32 s22, 7
	s_cbranch_scc1 .LBB2_45
; %bb.42:                               ;   in Loop: Header=BB2_33 Depth=2
	s_cmp_eq_u32 s22, 0
	s_cbranch_scc1 .LBB2_46
; %bb.43:                               ;   in Loop: Header=BB2_33 Depth=2
	v_mov_b32_e32 v13, 0
	s_mov_b64 s[18:19], 0
	v_mov_b32_e32 v14, 0
	s_mov_b64 s[20:21], 0
.LBB2_44:                               ;   Parent Loop BB2_4 Depth=1
                                        ;     Parent Loop BB2_33 Depth=2
                                        ; =>    This Inner Loop Header: Depth=3
	s_add_u32 s24, s0, s20
	s_addc_u32 s25, s1, s21
	global_load_ubyte v1, v2, s[24:25]
	s_add_u32 s20, s20, 1
	s_addc_u32 s21, s21, 0
	s_waitcnt vmcnt(0)
	v_and_b32_e32 v1, 0xffff, v1
	v_lshlrev_b64 v[3:4], s18, v[1:2]
	s_add_u32 s18, s18, 8
	s_addc_u32 s19, s19, 0
	v_or_b32_e32 v13, v3, v13
	s_cmp_lg_u32 s22, s20
	v_or_b32_e32 v14, v4, v14
	s_cbranch_scc1 .LBB2_44
	s_branch .LBB2_47
.LBB2_45:                               ;   in Loop: Header=BB2_33 Depth=2
                                        ; implicit-def: $vgpr13_vgpr14
	s_mov_b32 s23, 0
	s_branch .LBB2_48
.LBB2_46:                               ;   in Loop: Header=BB2_33 Depth=2
	v_mov_b32_e32 v13, 0
	v_mov_b32_e32 v14, 0
.LBB2_47:                               ;   in Loop: Header=BB2_33 Depth=2
	s_mov_b64 s[18:19], s[0:1]
	s_mov_b32 s23, 0
	s_cbranch_execnz .LBB2_49
.LBB2_48:                               ;   in Loop: Header=BB2_33 Depth=2
	global_load_dwordx2 v[13:14], v2, s[0:1]
	s_add_i32 s23, s22, -8
.LBB2_49:                               ;   in Loop: Header=BB2_33 Depth=2
	s_add_u32 s0, s18, 8
	s_addc_u32 s1, s19, 0
	s_cmp_gt_u32 s23, 7
	s_cbranch_scc1 .LBB2_53
; %bb.50:                               ;   in Loop: Header=BB2_33 Depth=2
	s_cmp_eq_u32 s23, 0
	s_cbranch_scc1 .LBB2_54
; %bb.51:                               ;   in Loop: Header=BB2_33 Depth=2
	v_mov_b32_e32 v15, 0
	s_mov_b64 s[0:1], 0
	v_mov_b32_e32 v16, 0
	s_mov_b64 s[20:21], 0
.LBB2_52:                               ;   Parent Loop BB2_4 Depth=1
                                        ;     Parent Loop BB2_33 Depth=2
                                        ; =>    This Inner Loop Header: Depth=3
	s_add_u32 s24, s18, s20
	s_addc_u32 s25, s19, s21
	global_load_ubyte v1, v2, s[24:25]
	s_add_u32 s20, s20, 1
	s_addc_u32 s21, s21, 0
	s_waitcnt vmcnt(0)
	v_and_b32_e32 v1, 0xffff, v1
	v_lshlrev_b64 v[3:4], s0, v[1:2]
	s_add_u32 s0, s0, 8
	s_addc_u32 s1, s1, 0
	v_or_b32_e32 v15, v3, v15
	s_cmp_lg_u32 s23, s20
	v_or_b32_e32 v16, v4, v16
	s_cbranch_scc1 .LBB2_52
	s_branch .LBB2_55
.LBB2_53:                               ;   in Loop: Header=BB2_33 Depth=2
	s_mov_b32 s22, 0
	s_branch .LBB2_56
.LBB2_54:                               ;   in Loop: Header=BB2_33 Depth=2
	v_mov_b32_e32 v15, 0
	v_mov_b32_e32 v16, 0
.LBB2_55:                               ;   in Loop: Header=BB2_33 Depth=2
	s_mov_b64 s[0:1], s[18:19]
	s_mov_b32 s22, 0
	s_cbranch_execnz .LBB2_57
.LBB2_56:                               ;   in Loop: Header=BB2_33 Depth=2
	global_load_dwordx2 v[15:16], v2, s[18:19]
	s_add_i32 s22, s23, -8
.LBB2_57:                               ;   in Loop: Header=BB2_33 Depth=2
	s_add_u32 s18, s0, 8
	s_addc_u32 s19, s1, 0
	s_cmp_gt_u32 s22, 7
	s_cbranch_scc1 .LBB2_61
; %bb.58:                               ;   in Loop: Header=BB2_33 Depth=2
	s_cmp_eq_u32 s22, 0
	s_cbranch_scc1 .LBB2_62
; %bb.59:                               ;   in Loop: Header=BB2_33 Depth=2
	v_mov_b32_e32 v17, 0
	s_mov_b64 s[18:19], 0
	v_mov_b32_e32 v18, 0
	s_mov_b64 s[20:21], 0
.LBB2_60:                               ;   Parent Loop BB2_4 Depth=1
                                        ;     Parent Loop BB2_33 Depth=2
                                        ; =>    This Inner Loop Header: Depth=3
	s_add_u32 s24, s0, s20
	s_addc_u32 s25, s1, s21
	global_load_ubyte v1, v2, s[24:25]
	s_add_u32 s20, s20, 1
	s_addc_u32 s21, s21, 0
	s_waitcnt vmcnt(0)
	v_and_b32_e32 v1, 0xffff, v1
	v_lshlrev_b64 v[3:4], s18, v[1:2]
	s_add_u32 s18, s18, 8
	s_addc_u32 s19, s19, 0
	v_or_b32_e32 v17, v3, v17
	s_cmp_lg_u32 s22, s20
	v_or_b32_e32 v18, v4, v18
	s_cbranch_scc1 .LBB2_60
	s_branch .LBB2_63
.LBB2_61:                               ;   in Loop: Header=BB2_33 Depth=2
                                        ; implicit-def: $vgpr17_vgpr18
	s_mov_b32 s23, 0
	s_branch .LBB2_64
.LBB2_62:                               ;   in Loop: Header=BB2_33 Depth=2
	v_mov_b32_e32 v17, 0
	v_mov_b32_e32 v18, 0
.LBB2_63:                               ;   in Loop: Header=BB2_33 Depth=2
	s_mov_b64 s[18:19], s[0:1]
	s_mov_b32 s23, 0
	s_cbranch_execnz .LBB2_65
.LBB2_64:                               ;   in Loop: Header=BB2_33 Depth=2
	global_load_dwordx2 v[17:18], v2, s[0:1]
	s_add_i32 s23, s22, -8
.LBB2_65:                               ;   in Loop: Header=BB2_33 Depth=2
	s_add_u32 s0, s18, 8
	s_addc_u32 s1, s19, 0
	s_cmp_gt_u32 s23, 7
	s_cbranch_scc1 .LBB2_69
; %bb.66:                               ;   in Loop: Header=BB2_33 Depth=2
	s_cmp_eq_u32 s23, 0
	s_cbranch_scc1 .LBB2_70
; %bb.67:                               ;   in Loop: Header=BB2_33 Depth=2
	v_mov_b32_e32 v19, 0
	s_mov_b64 s[0:1], 0
	v_mov_b32_e32 v20, 0
	s_mov_b64 s[20:21], 0
.LBB2_68:                               ;   Parent Loop BB2_4 Depth=1
                                        ;     Parent Loop BB2_33 Depth=2
                                        ; =>    This Inner Loop Header: Depth=3
	s_add_u32 s24, s18, s20
	s_addc_u32 s25, s19, s21
	global_load_ubyte v1, v2, s[24:25]
	s_add_u32 s20, s20, 1
	s_addc_u32 s21, s21, 0
	s_waitcnt vmcnt(0)
	v_and_b32_e32 v1, 0xffff, v1
	v_lshlrev_b64 v[3:4], s0, v[1:2]
	s_add_u32 s0, s0, 8
	s_addc_u32 s1, s1, 0
	v_or_b32_e32 v19, v3, v19
	s_cmp_lg_u32 s23, s20
	v_or_b32_e32 v20, v4, v20
	s_cbranch_scc1 .LBB2_68
	s_branch .LBB2_71
.LBB2_69:                               ;   in Loop: Header=BB2_33 Depth=2
	s_mov_b32 s22, 0
	s_branch .LBB2_72
.LBB2_70:                               ;   in Loop: Header=BB2_33 Depth=2
	v_mov_b32_e32 v19, 0
	v_mov_b32_e32 v20, 0
.LBB2_71:                               ;   in Loop: Header=BB2_33 Depth=2
	s_mov_b64 s[0:1], s[18:19]
	s_mov_b32 s22, 0
	s_cbranch_execnz .LBB2_73
.LBB2_72:                               ;   in Loop: Header=BB2_33 Depth=2
	global_load_dwordx2 v[19:20], v2, s[18:19]
	s_add_i32 s22, s23, -8
.LBB2_73:                               ;   in Loop: Header=BB2_33 Depth=2
	s_add_u32 s18, s0, 8
	s_addc_u32 s19, s1, 0
	s_cmp_gt_u32 s22, 7
	s_cbranch_scc1 .LBB2_77
; %bb.74:                               ;   in Loop: Header=BB2_33 Depth=2
	s_cmp_eq_u32 s22, 0
	s_cbranch_scc1 .LBB2_78
; %bb.75:                               ;   in Loop: Header=BB2_33 Depth=2
	v_mov_b32_e32 v21, 0
	s_mov_b64 s[18:19], 0
	v_mov_b32_e32 v22, 0
	s_mov_b64 s[20:21], 0
.LBB2_76:                               ;   Parent Loop BB2_4 Depth=1
                                        ;     Parent Loop BB2_33 Depth=2
                                        ; =>    This Inner Loop Header: Depth=3
	s_add_u32 s24, s0, s20
	s_addc_u32 s25, s1, s21
	global_load_ubyte v1, v2, s[24:25]
	s_add_u32 s20, s20, 1
	s_addc_u32 s21, s21, 0
	s_waitcnt vmcnt(0)
	v_and_b32_e32 v1, 0xffff, v1
	v_lshlrev_b64 v[3:4], s18, v[1:2]
	s_add_u32 s18, s18, 8
	s_addc_u32 s19, s19, 0
	v_or_b32_e32 v21, v3, v21
	s_cmp_lg_u32 s22, s20
	v_or_b32_e32 v22, v4, v22
	s_cbranch_scc1 .LBB2_76
	s_branch .LBB2_79
.LBB2_77:                               ;   in Loop: Header=BB2_33 Depth=2
                                        ; implicit-def: $vgpr21_vgpr22
	s_mov_b32 s23, 0
	s_branch .LBB2_80
.LBB2_78:                               ;   in Loop: Header=BB2_33 Depth=2
	v_mov_b32_e32 v21, 0
	v_mov_b32_e32 v22, 0
.LBB2_79:                               ;   in Loop: Header=BB2_33 Depth=2
	s_mov_b64 s[18:19], s[0:1]
	s_mov_b32 s23, 0
	s_cbranch_execnz .LBB2_81
.LBB2_80:                               ;   in Loop: Header=BB2_33 Depth=2
	global_load_dwordx2 v[21:22], v2, s[0:1]
	s_add_i32 s23, s22, -8
.LBB2_81:                               ;   in Loop: Header=BB2_33 Depth=2
	s_cmp_gt_u32 s23, 7
	s_cbranch_scc1 .LBB2_85
; %bb.82:                               ;   in Loop: Header=BB2_33 Depth=2
	s_cmp_eq_u32 s23, 0
	s_cbranch_scc1 .LBB2_86
; %bb.83:                               ;   in Loop: Header=BB2_33 Depth=2
	v_mov_b32_e32 v23, 0
	s_mov_b64 s[0:1], 0
	v_mov_b32_e32 v24, 0
	s_mov_b64 s[20:21], s[18:19]
.LBB2_84:                               ;   Parent Loop BB2_4 Depth=1
                                        ;     Parent Loop BB2_33 Depth=2
                                        ; =>    This Inner Loop Header: Depth=3
	global_load_ubyte v1, v2, s[20:21]
	s_add_i32 s23, s23, -1
	s_waitcnt vmcnt(0)
	v_and_b32_e32 v1, 0xffff, v1
	v_lshlrev_b64 v[3:4], s0, v[1:2]
	s_add_u32 s0, s0, 8
	s_addc_u32 s1, s1, 0
	s_add_u32 s20, s20, 1
	s_addc_u32 s21, s21, 0
	v_or_b32_e32 v23, v3, v23
	s_cmp_lg_u32 s23, 0
	v_or_b32_e32 v24, v4, v24
	s_cbranch_scc1 .LBB2_84
	s_branch .LBB2_87
.LBB2_85:                               ;   in Loop: Header=BB2_33 Depth=2
	s_branch .LBB2_88
.LBB2_86:                               ;   in Loop: Header=BB2_33 Depth=2
	v_mov_b32_e32 v23, 0
	v_mov_b32_e32 v24, 0
.LBB2_87:                               ;   in Loop: Header=BB2_33 Depth=2
	s_cbranch_execnz .LBB2_89
.LBB2_88:                               ;   in Loop: Header=BB2_33 Depth=2
	global_load_dwordx2 v[23:24], v2, s[18:19]
.LBB2_89:                               ;   in Loop: Header=BB2_33 Depth=2
	v_readfirstlane_b32 s0, v31
	v_mov_b32_e32 v3, 0
	v_mov_b32_e32 v4, 0
	v_cmp_eq_u32_e64 s[0:1], s0, v31
	s_and_saveexec_b64 s[18:19], s[0:1]
	s_cbranch_execz .LBB2_95
; %bb.90:                               ;   in Loop: Header=BB2_33 Depth=2
	global_load_dwordx2 v[27:28], v2, s[2:3] offset:24 glc
	s_waitcnt vmcnt(0)
	buffer_wbinvl1_vol
	global_load_dwordx2 v[3:4], v2, s[2:3] offset:40
	global_load_dwordx2 v[25:26], v2, s[2:3]
	s_waitcnt vmcnt(1)
	v_and_b32_e32 v1, v3, v27
	v_and_b32_e32 v3, v4, v28
	v_mul_lo_u32 v3, v3, 24
	v_mul_hi_u32 v4, v1, 24
	v_mul_lo_u32 v1, v1, 24
	v_add_u32_e32 v4, v4, v3
	s_waitcnt vmcnt(0)
	v_add_co_u32_e32 v3, vcc, v25, v1
	v_addc_co_u32_e32 v4, vcc, v26, v4, vcc
	global_load_dwordx2 v[25:26], v[3:4], off glc
	s_waitcnt vmcnt(0)
	global_atomic_cmpswap_x2 v[3:4], v2, v[25:28], s[2:3] offset:24 glc
	s_waitcnt vmcnt(0)
	buffer_wbinvl1_vol
	v_cmp_ne_u64_e32 vcc, v[3:4], v[27:28]
	s_and_saveexec_b64 s[20:21], vcc
	s_cbranch_execz .LBB2_94
; %bb.91:                               ;   in Loop: Header=BB2_33 Depth=2
	s_mov_b64 s[22:23], 0
.LBB2_92:                               ;   Parent Loop BB2_4 Depth=1
                                        ;     Parent Loop BB2_33 Depth=2
                                        ; =>    This Inner Loop Header: Depth=3
	s_sleep 1
	global_load_dwordx2 v[25:26], v2, s[2:3] offset:40
	global_load_dwordx2 v[29:30], v2, s[2:3]
	v_mov_b32_e32 v28, v4
	v_mov_b32_e32 v27, v3
	s_waitcnt vmcnt(1)
	v_and_b32_e32 v1, v25, v27
	s_waitcnt vmcnt(0)
	v_mad_u64_u32 v[3:4], s[24:25], v1, 24, v[29:30]
	v_and_b32_e32 v25, v26, v28
	v_mov_b32_e32 v1, v4
	v_mad_u64_u32 v[25:26], s[24:25], v25, 24, v[1:2]
	v_mov_b32_e32 v4, v25
	global_load_dwordx2 v[25:26], v[3:4], off glc
	s_waitcnt vmcnt(0)
	global_atomic_cmpswap_x2 v[3:4], v2, v[25:28], s[2:3] offset:24 glc
	s_waitcnt vmcnt(0)
	buffer_wbinvl1_vol
	v_cmp_eq_u64_e32 vcc, v[3:4], v[27:28]
	s_or_b64 s[22:23], vcc, s[22:23]
	s_andn2_b64 exec, exec, s[22:23]
	s_cbranch_execnz .LBB2_92
; %bb.93:                               ;   in Loop: Header=BB2_33 Depth=2
	s_or_b64 exec, exec, s[22:23]
.LBB2_94:                               ;   in Loop: Header=BB2_33 Depth=2
	s_or_b64 exec, exec, s[20:21]
.LBB2_95:                               ;   in Loop: Header=BB2_33 Depth=2
	s_or_b64 exec, exec, s[18:19]
	global_load_dwordx2 v[29:30], v2, s[2:3] offset:40
	global_load_dwordx4 v[25:28], v2, s[2:3]
	v_readfirstlane_b32 s19, v4
	v_readfirstlane_b32 s18, v3
	s_mov_b64 s[20:21], exec
	s_waitcnt vmcnt(1)
	v_readfirstlane_b32 s22, v29
	v_readfirstlane_b32 s23, v30
	s_and_b64 s[22:23], s[22:23], s[18:19]
	s_mul_i32 s24, s23, 24
	s_mul_hi_u32 s25, s22, 24
	s_mul_i32 s30, s22, 24
	s_add_i32 s24, s25, s24
	v_mov_b32_e32 v1, s24
	s_waitcnt vmcnt(0)
	v_add_co_u32_e32 v29, vcc, s30, v25
	v_addc_co_u32_e32 v30, vcc, v26, v1, vcc
	s_and_saveexec_b64 s[24:25], s[0:1]
	s_cbranch_execz .LBB2_97
; %bb.96:                               ;   in Loop: Header=BB2_33 Depth=2
	v_mov_b32_e32 v3, s20
	v_mov_b32_e32 v4, s21
	global_store_dwordx4 v[29:30], v[3:6], off offset:8
.LBB2_97:                               ;   in Loop: Header=BB2_33 Depth=2
	s_or_b64 exec, exec, s[24:25]
	s_lshl_b64 s[20:21], s[22:23], 12
	v_mov_b32_e32 v1, s21
	v_add_co_u32_e32 v27, vcc, s20, v27
	v_addc_co_u32_e32 v28, vcc, v28, v1, vcc
	v_cmp_lt_u64_e64 vcc, s[14:15], 57
	v_and_b32_e32 v1, 2, v11
	s_lshl_b32 s20, s16, 2
	v_cndmask_b32_e32 v1, 0, v1, vcc
	s_add_i32 s20, s20, 28
	v_and_b32_e32 v3, 0xffffff1f, v7
	s_and_b32 s20, s20, 0x1e0
	v_or_b32_e32 v1, v3, v1
	v_or_b32_e32 v7, s20, v1
	v_readfirstlane_b32 s20, v27
	v_readfirstlane_b32 s21, v28
	s_nop 4
	global_store_dwordx4 v32, v[7:10], s[20:21]
	global_store_dwordx4 v32, v[13:16], s[20:21] offset:16
	global_store_dwordx4 v32, v[17:20], s[20:21] offset:32
	;; [unrolled: 1-line block ×3, first 2 shown]
	s_and_saveexec_b64 s[20:21], s[0:1]
	s_cbranch_execz .LBB2_105
; %bb.98:                               ;   in Loop: Header=BB2_33 Depth=2
	global_load_dwordx2 v[15:16], v2, s[2:3] offset:32 glc
	global_load_dwordx2 v[3:4], v2, s[2:3] offset:40
	v_mov_b32_e32 v13, s18
	v_mov_b32_e32 v14, s19
	s_waitcnt vmcnt(0)
	v_readfirstlane_b32 s22, v3
	v_readfirstlane_b32 s23, v4
	s_and_b64 s[22:23], s[22:23], s[18:19]
	s_mul_i32 s23, s23, 24
	s_mul_hi_u32 s24, s22, 24
	s_mul_i32 s22, s22, 24
	s_add_i32 s23, s24, s23
	v_mov_b32_e32 v1, s23
	v_add_co_u32_e32 v3, vcc, s22, v25
	v_addc_co_u32_e32 v4, vcc, v26, v1, vcc
	global_store_dwordx2 v[3:4], v[15:16], off
	s_waitcnt vmcnt(0)
	global_atomic_cmpswap_x2 v[9:10], v2, v[13:16], s[2:3] offset:32 glc
	s_waitcnt vmcnt(0)
	v_cmp_ne_u64_e32 vcc, v[9:10], v[15:16]
	s_and_saveexec_b64 s[22:23], vcc
	s_cbranch_execz .LBB2_101
; %bb.99:                               ;   in Loop: Header=BB2_33 Depth=2
	s_mov_b64 s[24:25], 0
.LBB2_100:                              ;   Parent Loop BB2_4 Depth=1
                                        ;     Parent Loop BB2_33 Depth=2
                                        ; =>    This Inner Loop Header: Depth=3
	s_sleep 1
	global_store_dwordx2 v[3:4], v[9:10], off
	v_mov_b32_e32 v7, s18
	v_mov_b32_e32 v8, s19
	s_waitcnt vmcnt(0)
	global_atomic_cmpswap_x2 v[7:8], v2, v[7:10], s[2:3] offset:32 glc
	s_waitcnt vmcnt(0)
	v_cmp_eq_u64_e32 vcc, v[7:8], v[9:10]
	v_mov_b32_e32 v10, v8
	s_or_b64 s[24:25], vcc, s[24:25]
	v_mov_b32_e32 v9, v7
	s_andn2_b64 exec, exec, s[24:25]
	s_cbranch_execnz .LBB2_100
.LBB2_101:                              ;   in Loop: Header=BB2_33 Depth=2
	s_or_b64 exec, exec, s[22:23]
	global_load_dwordx2 v[3:4], v2, s[2:3] offset:16
	s_mov_b64 s[24:25], exec
	v_mbcnt_lo_u32_b32 v1, s24, 0
	v_mbcnt_hi_u32_b32 v1, s25, v1
	v_cmp_eq_u32_e32 vcc, 0, v1
	s_and_saveexec_b64 s[22:23], vcc
	s_cbranch_execz .LBB2_103
; %bb.102:                              ;   in Loop: Header=BB2_33 Depth=2
	s_bcnt1_i32_b64 s24, s[24:25]
	v_mov_b32_e32 v1, s24
	s_waitcnt vmcnt(0)
	global_atomic_add_x2 v[3:4], v[1:2], off offset:8
.LBB2_103:                              ;   in Loop: Header=BB2_33 Depth=2
	s_or_b64 exec, exec, s[22:23]
	s_waitcnt vmcnt(0)
	global_load_dwordx2 v[7:8], v[3:4], off offset:16
	s_waitcnt vmcnt(0)
	v_cmp_eq_u64_e32 vcc, 0, v[7:8]
	s_cbranch_vccnz .LBB2_105
; %bb.104:                              ;   in Loop: Header=BB2_33 Depth=2
	global_load_dword v1, v[3:4], off offset:24
	s_waitcnt vmcnt(0)
	v_readfirstlane_b32 s22, v1
	s_and_b32 m0, s22, 0xffffff
	global_store_dwordx2 v[7:8], v[1:2], off
	s_sendmsg sendmsg(MSG_INTERRUPT)
.LBB2_105:                              ;   in Loop: Header=BB2_33 Depth=2
	s_or_b64 exec, exec, s[20:21]
	v_add_co_u32_e32 v3, vcc, v27, v32
	v_addc_co_u32_e32 v4, vcc, 0, v28, vcc
	s_branch .LBB2_109
.LBB2_106:                              ;   in Loop: Header=BB2_109 Depth=3
	s_or_b64 exec, exec, s[20:21]
	v_readfirstlane_b32 s20, v1
	s_cmp_eq_u32 s20, 0
	s_cbranch_scc1 .LBB2_108
; %bb.107:                              ;   in Loop: Header=BB2_109 Depth=3
	s_sleep 1
	s_cbranch_execnz .LBB2_109
	s_branch .LBB2_111
.LBB2_108:                              ;   in Loop: Header=BB2_33 Depth=2
	s_branch .LBB2_111
.LBB2_109:                              ;   Parent Loop BB2_4 Depth=1
                                        ;     Parent Loop BB2_33 Depth=2
                                        ; =>    This Inner Loop Header: Depth=3
	v_mov_b32_e32 v1, 1
	s_and_saveexec_b64 s[20:21], s[0:1]
	s_cbranch_execz .LBB2_106
; %bb.110:                              ;   in Loop: Header=BB2_109 Depth=3
	global_load_dword v1, v[29:30], off offset:20 glc
	s_waitcnt vmcnt(0)
	buffer_wbinvl1_vol
	v_and_b32_e32 v1, 1, v1
	s_branch .LBB2_106
.LBB2_111:                              ;   in Loop: Header=BB2_33 Depth=2
	global_load_dwordx2 v[7:8], v[3:4], off
	s_and_saveexec_b64 s[20:21], s[0:1]
	s_cbranch_execz .LBB2_32
; %bb.112:                              ;   in Loop: Header=BB2_33 Depth=2
	global_load_dwordx2 v[3:4], v2, s[2:3] offset:40
	global_load_dwordx2 v[17:18], v2, s[2:3] offset:24 glc
	global_load_dwordx2 v[9:10], v2, s[2:3]
	s_waitcnt vmcnt(2)
	v_readfirstlane_b32 s22, v3
	v_readfirstlane_b32 s23, v4
	s_add_u32 s24, s22, 1
	s_addc_u32 s25, s23, 0
	s_add_u32 s0, s24, s18
	s_addc_u32 s1, s25, s19
	s_cmp_eq_u64 s[0:1], 0
	s_cselect_b32 s1, s25, s1
	s_cselect_b32 s0, s24, s0
	s_and_b64 s[18:19], s[0:1], s[22:23]
	s_mul_i32 s19, s19, 24
	s_mul_hi_u32 s22, s18, 24
	s_mul_i32 s18, s18, 24
	s_add_i32 s19, s22, s19
	v_mov_b32_e32 v1, s19
	s_waitcnt vmcnt(0)
	v_add_co_u32_e32 v3, vcc, s18, v9
	v_addc_co_u32_e32 v4, vcc, v10, v1, vcc
	v_mov_b32_e32 v15, s0
	global_store_dwordx2 v[3:4], v[17:18], off
	v_mov_b32_e32 v16, s1
	s_waitcnt vmcnt(0)
	global_atomic_cmpswap_x2 v[15:16], v2, v[15:18], s[2:3] offset:24 glc
	s_waitcnt vmcnt(0)
	v_cmp_ne_u64_e32 vcc, v[15:16], v[17:18]
	s_and_b64 exec, exec, vcc
	s_cbranch_execz .LBB2_32
; %bb.113:                              ;   in Loop: Header=BB2_33 Depth=2
	s_mov_b64 s[18:19], 0
.LBB2_114:                              ;   Parent Loop BB2_4 Depth=1
                                        ;     Parent Loop BB2_33 Depth=2
                                        ; =>    This Inner Loop Header: Depth=3
	s_sleep 1
	global_store_dwordx2 v[3:4], v[15:16], off
	v_mov_b32_e32 v13, s0
	v_mov_b32_e32 v14, s1
	s_waitcnt vmcnt(0)
	global_atomic_cmpswap_x2 v[9:10], v2, v[13:16], s[2:3] offset:24 glc
	s_waitcnt vmcnt(0)
	v_cmp_eq_u64_e32 vcc, v[9:10], v[15:16]
	v_mov_b32_e32 v16, v10
	s_or_b64 s[18:19], vcc, s[18:19]
	v_mov_b32_e32 v15, v9
	s_andn2_b64 exec, exec, s[18:19]
	s_cbranch_execnz .LBB2_114
	s_branch .LBB2_32
.LBB2_115:                              ;   in Loop: Header=BB2_4 Depth=1
.LBB2_116:                              ;   in Loop: Header=BB2_4 Depth=1
	s_and_b64 vcc, exec, s[10:11]
	s_cbranch_vccz .LBB2_230
.LBB2_117:                              ;   in Loop: Header=BB2_4 Depth=1
	s_waitcnt vmcnt(0)
	v_and_b32_e32 v9, -3, v7
	v_mov_b32_e32 v10, v8
	s_mov_b64 s[14:15], 56
	s_getpc_b64 s[12:13]
	s_add_u32 s12, s12, .str.2@rel32@lo+4
	s_addc_u32 s13, s13, .str.2@rel32@hi+12
	s_branch .LBB2_119
.LBB2_118:                              ;   in Loop: Header=BB2_119 Depth=2
	s_or_b64 exec, exec, s[20:21]
	s_sub_u32 s14, s14, s16
	s_subb_u32 s15, s15, s17
	s_add_u32 s12, s12, s16
	s_addc_u32 s13, s13, s17
	s_cmp_lg_u64 s[14:15], 0
	s_cbranch_scc0 .LBB2_201
.LBB2_119:                              ;   Parent Loop BB2_4 Depth=1
                                        ; =>  This Loop Header: Depth=2
                                        ;       Child Loop BB2_122 Depth 3
                                        ;       Child Loop BB2_130 Depth 3
	;; [unrolled: 1-line block ×11, first 2 shown]
	v_cmp_lt_u64_e64 s[0:1], s[14:15], 56
	v_cmp_gt_u64_e64 s[18:19], s[14:15], 7
	s_and_b64 s[0:1], s[0:1], exec
	s_cselect_b32 s17, s15, 0
	s_cselect_b32 s16, s14, 56
	s_add_u32 s0, s12, 8
	s_addc_u32 s1, s13, 0
	s_and_b64 vcc, exec, s[18:19]
	s_cbranch_vccnz .LBB2_123
; %bb.120:                              ;   in Loop: Header=BB2_119 Depth=2
	s_cmp_eq_u64 s[14:15], 0
	s_cbranch_scc1 .LBB2_124
; %bb.121:                              ;   in Loop: Header=BB2_119 Depth=2
	s_waitcnt vmcnt(0)
	v_mov_b32_e32 v11, 0
	s_lshl_b64 s[0:1], s[16:17], 3
	s_mov_b64 s[18:19], 0
	v_mov_b32_e32 v12, 0
	s_mov_b64 s[20:21], s[12:13]
.LBB2_122:                              ;   Parent Loop BB2_4 Depth=1
                                        ;     Parent Loop BB2_119 Depth=2
                                        ; =>    This Inner Loop Header: Depth=3
	global_load_ubyte v1, v2, s[20:21]
	s_waitcnt vmcnt(0)
	v_and_b32_e32 v1, 0xffff, v1
	v_lshlrev_b64 v[3:4], s18, v[1:2]
	s_add_u32 s18, s18, 8
	s_addc_u32 s19, s19, 0
	s_add_u32 s20, s20, 1
	s_addc_u32 s21, s21, 0
	v_or_b32_e32 v11, v3, v11
	s_cmp_lg_u32 s0, s18
	v_or_b32_e32 v12, v4, v12
	s_cbranch_scc1 .LBB2_122
	s_branch .LBB2_125
.LBB2_123:                              ;   in Loop: Header=BB2_119 Depth=2
	s_mov_b32 s22, 0
	s_branch .LBB2_126
.LBB2_124:                              ;   in Loop: Header=BB2_119 Depth=2
	s_waitcnt vmcnt(0)
	v_mov_b32_e32 v11, 0
	v_mov_b32_e32 v12, 0
.LBB2_125:                              ;   in Loop: Header=BB2_119 Depth=2
	s_mov_b64 s[0:1], s[12:13]
	s_mov_b32 s22, 0
	s_cbranch_execnz .LBB2_127
.LBB2_126:                              ;   in Loop: Header=BB2_119 Depth=2
	global_load_dwordx2 v[11:12], v2, s[12:13]
	s_add_i32 s22, s16, -8
.LBB2_127:                              ;   in Loop: Header=BB2_119 Depth=2
	s_add_u32 s18, s0, 8
	s_addc_u32 s19, s1, 0
	s_cmp_gt_u32 s22, 7
	s_cbranch_scc1 .LBB2_131
; %bb.128:                              ;   in Loop: Header=BB2_119 Depth=2
	s_cmp_eq_u32 s22, 0
	s_cbranch_scc1 .LBB2_132
; %bb.129:                              ;   in Loop: Header=BB2_119 Depth=2
	v_mov_b32_e32 v13, 0
	s_mov_b64 s[18:19], 0
	v_mov_b32_e32 v14, 0
	s_mov_b64 s[20:21], 0
.LBB2_130:                              ;   Parent Loop BB2_4 Depth=1
                                        ;     Parent Loop BB2_119 Depth=2
                                        ; =>    This Inner Loop Header: Depth=3
	s_add_u32 s24, s0, s20
	s_addc_u32 s25, s1, s21
	global_load_ubyte v1, v2, s[24:25]
	s_add_u32 s20, s20, 1
	s_addc_u32 s21, s21, 0
	s_waitcnt vmcnt(0)
	v_and_b32_e32 v1, 0xffff, v1
	v_lshlrev_b64 v[3:4], s18, v[1:2]
	s_add_u32 s18, s18, 8
	s_addc_u32 s19, s19, 0
	v_or_b32_e32 v13, v3, v13
	s_cmp_lg_u32 s22, s20
	v_or_b32_e32 v14, v4, v14
	s_cbranch_scc1 .LBB2_130
	s_branch .LBB2_133
.LBB2_131:                              ;   in Loop: Header=BB2_119 Depth=2
                                        ; implicit-def: $vgpr13_vgpr14
	s_mov_b32 s23, 0
	s_branch .LBB2_134
.LBB2_132:                              ;   in Loop: Header=BB2_119 Depth=2
	v_mov_b32_e32 v13, 0
	v_mov_b32_e32 v14, 0
.LBB2_133:                              ;   in Loop: Header=BB2_119 Depth=2
	s_mov_b64 s[18:19], s[0:1]
	s_mov_b32 s23, 0
	s_cbranch_execnz .LBB2_135
.LBB2_134:                              ;   in Loop: Header=BB2_119 Depth=2
	global_load_dwordx2 v[13:14], v2, s[0:1]
	s_add_i32 s23, s22, -8
.LBB2_135:                              ;   in Loop: Header=BB2_119 Depth=2
	s_add_u32 s0, s18, 8
	s_addc_u32 s1, s19, 0
	s_cmp_gt_u32 s23, 7
	s_cbranch_scc1 .LBB2_139
; %bb.136:                              ;   in Loop: Header=BB2_119 Depth=2
	s_cmp_eq_u32 s23, 0
	s_cbranch_scc1 .LBB2_140
; %bb.137:                              ;   in Loop: Header=BB2_119 Depth=2
	v_mov_b32_e32 v15, 0
	s_mov_b64 s[0:1], 0
	v_mov_b32_e32 v16, 0
	s_mov_b64 s[20:21], 0
.LBB2_138:                              ;   Parent Loop BB2_4 Depth=1
                                        ;     Parent Loop BB2_119 Depth=2
                                        ; =>    This Inner Loop Header: Depth=3
	s_add_u32 s24, s18, s20
	s_addc_u32 s25, s19, s21
	global_load_ubyte v1, v2, s[24:25]
	s_add_u32 s20, s20, 1
	s_addc_u32 s21, s21, 0
	s_waitcnt vmcnt(0)
	v_and_b32_e32 v1, 0xffff, v1
	v_lshlrev_b64 v[3:4], s0, v[1:2]
	s_add_u32 s0, s0, 8
	s_addc_u32 s1, s1, 0
	v_or_b32_e32 v15, v3, v15
	s_cmp_lg_u32 s23, s20
	v_or_b32_e32 v16, v4, v16
	s_cbranch_scc1 .LBB2_138
	s_branch .LBB2_141
.LBB2_139:                              ;   in Loop: Header=BB2_119 Depth=2
	s_mov_b32 s22, 0
	s_branch .LBB2_142
.LBB2_140:                              ;   in Loop: Header=BB2_119 Depth=2
	v_mov_b32_e32 v15, 0
	v_mov_b32_e32 v16, 0
.LBB2_141:                              ;   in Loop: Header=BB2_119 Depth=2
	s_mov_b64 s[0:1], s[18:19]
	s_mov_b32 s22, 0
	s_cbranch_execnz .LBB2_143
.LBB2_142:                              ;   in Loop: Header=BB2_119 Depth=2
	global_load_dwordx2 v[15:16], v2, s[18:19]
	s_add_i32 s22, s23, -8
.LBB2_143:                              ;   in Loop: Header=BB2_119 Depth=2
	s_add_u32 s18, s0, 8
	s_addc_u32 s19, s1, 0
	s_cmp_gt_u32 s22, 7
	s_cbranch_scc1 .LBB2_147
; %bb.144:                              ;   in Loop: Header=BB2_119 Depth=2
	s_cmp_eq_u32 s22, 0
	s_cbranch_scc1 .LBB2_148
; %bb.145:                              ;   in Loop: Header=BB2_119 Depth=2
	v_mov_b32_e32 v17, 0
	s_mov_b64 s[18:19], 0
	v_mov_b32_e32 v18, 0
	s_mov_b64 s[20:21], 0
.LBB2_146:                              ;   Parent Loop BB2_4 Depth=1
                                        ;     Parent Loop BB2_119 Depth=2
                                        ; =>    This Inner Loop Header: Depth=3
	s_add_u32 s24, s0, s20
	s_addc_u32 s25, s1, s21
	global_load_ubyte v1, v2, s[24:25]
	s_add_u32 s20, s20, 1
	s_addc_u32 s21, s21, 0
	s_waitcnt vmcnt(0)
	v_and_b32_e32 v1, 0xffff, v1
	v_lshlrev_b64 v[3:4], s18, v[1:2]
	s_add_u32 s18, s18, 8
	s_addc_u32 s19, s19, 0
	v_or_b32_e32 v17, v3, v17
	s_cmp_lg_u32 s22, s20
	v_or_b32_e32 v18, v4, v18
	s_cbranch_scc1 .LBB2_146
	s_branch .LBB2_149
.LBB2_147:                              ;   in Loop: Header=BB2_119 Depth=2
                                        ; implicit-def: $vgpr17_vgpr18
	s_mov_b32 s23, 0
	s_branch .LBB2_150
.LBB2_148:                              ;   in Loop: Header=BB2_119 Depth=2
	v_mov_b32_e32 v17, 0
	v_mov_b32_e32 v18, 0
.LBB2_149:                              ;   in Loop: Header=BB2_119 Depth=2
	s_mov_b64 s[18:19], s[0:1]
	s_mov_b32 s23, 0
	s_cbranch_execnz .LBB2_151
.LBB2_150:                              ;   in Loop: Header=BB2_119 Depth=2
	global_load_dwordx2 v[17:18], v2, s[0:1]
	s_add_i32 s23, s22, -8
.LBB2_151:                              ;   in Loop: Header=BB2_119 Depth=2
	s_add_u32 s0, s18, 8
	s_addc_u32 s1, s19, 0
	s_cmp_gt_u32 s23, 7
	s_cbranch_scc1 .LBB2_155
; %bb.152:                              ;   in Loop: Header=BB2_119 Depth=2
	s_cmp_eq_u32 s23, 0
	s_cbranch_scc1 .LBB2_156
; %bb.153:                              ;   in Loop: Header=BB2_119 Depth=2
	v_mov_b32_e32 v19, 0
	s_mov_b64 s[0:1], 0
	v_mov_b32_e32 v20, 0
	s_mov_b64 s[20:21], 0
.LBB2_154:                              ;   Parent Loop BB2_4 Depth=1
                                        ;     Parent Loop BB2_119 Depth=2
                                        ; =>    This Inner Loop Header: Depth=3
	s_add_u32 s24, s18, s20
	s_addc_u32 s25, s19, s21
	global_load_ubyte v1, v2, s[24:25]
	s_add_u32 s20, s20, 1
	s_addc_u32 s21, s21, 0
	s_waitcnt vmcnt(0)
	v_and_b32_e32 v1, 0xffff, v1
	v_lshlrev_b64 v[3:4], s0, v[1:2]
	s_add_u32 s0, s0, 8
	s_addc_u32 s1, s1, 0
	v_or_b32_e32 v19, v3, v19
	s_cmp_lg_u32 s23, s20
	v_or_b32_e32 v20, v4, v20
	s_cbranch_scc1 .LBB2_154
	s_branch .LBB2_157
.LBB2_155:                              ;   in Loop: Header=BB2_119 Depth=2
	s_mov_b32 s22, 0
	s_branch .LBB2_158
.LBB2_156:                              ;   in Loop: Header=BB2_119 Depth=2
	v_mov_b32_e32 v19, 0
	v_mov_b32_e32 v20, 0
.LBB2_157:                              ;   in Loop: Header=BB2_119 Depth=2
	s_mov_b64 s[0:1], s[18:19]
	s_mov_b32 s22, 0
	s_cbranch_execnz .LBB2_159
.LBB2_158:                              ;   in Loop: Header=BB2_119 Depth=2
	global_load_dwordx2 v[19:20], v2, s[18:19]
	s_add_i32 s22, s23, -8
.LBB2_159:                              ;   in Loop: Header=BB2_119 Depth=2
	s_add_u32 s18, s0, 8
	s_addc_u32 s19, s1, 0
	s_cmp_gt_u32 s22, 7
	s_cbranch_scc1 .LBB2_163
; %bb.160:                              ;   in Loop: Header=BB2_119 Depth=2
	s_cmp_eq_u32 s22, 0
	s_cbranch_scc1 .LBB2_164
; %bb.161:                              ;   in Loop: Header=BB2_119 Depth=2
	v_mov_b32_e32 v21, 0
	s_mov_b64 s[18:19], 0
	v_mov_b32_e32 v22, 0
	s_mov_b64 s[20:21], 0
.LBB2_162:                              ;   Parent Loop BB2_4 Depth=1
                                        ;     Parent Loop BB2_119 Depth=2
                                        ; =>    This Inner Loop Header: Depth=3
	s_add_u32 s24, s0, s20
	s_addc_u32 s25, s1, s21
	global_load_ubyte v1, v2, s[24:25]
	s_add_u32 s20, s20, 1
	s_addc_u32 s21, s21, 0
	s_waitcnt vmcnt(0)
	v_and_b32_e32 v1, 0xffff, v1
	v_lshlrev_b64 v[3:4], s18, v[1:2]
	s_add_u32 s18, s18, 8
	s_addc_u32 s19, s19, 0
	v_or_b32_e32 v21, v3, v21
	s_cmp_lg_u32 s22, s20
	v_or_b32_e32 v22, v4, v22
	s_cbranch_scc1 .LBB2_162
	s_branch .LBB2_165
.LBB2_163:                              ;   in Loop: Header=BB2_119 Depth=2
                                        ; implicit-def: $vgpr21_vgpr22
	s_mov_b32 s23, 0
	s_branch .LBB2_166
.LBB2_164:                              ;   in Loop: Header=BB2_119 Depth=2
	v_mov_b32_e32 v21, 0
	v_mov_b32_e32 v22, 0
.LBB2_165:                              ;   in Loop: Header=BB2_119 Depth=2
	s_mov_b64 s[18:19], s[0:1]
	s_mov_b32 s23, 0
	s_cbranch_execnz .LBB2_167
.LBB2_166:                              ;   in Loop: Header=BB2_119 Depth=2
	global_load_dwordx2 v[21:22], v2, s[0:1]
	s_add_i32 s23, s22, -8
.LBB2_167:                              ;   in Loop: Header=BB2_119 Depth=2
	s_cmp_gt_u32 s23, 7
	s_cbranch_scc1 .LBB2_171
; %bb.168:                              ;   in Loop: Header=BB2_119 Depth=2
	s_cmp_eq_u32 s23, 0
	s_cbranch_scc1 .LBB2_172
; %bb.169:                              ;   in Loop: Header=BB2_119 Depth=2
	v_mov_b32_e32 v23, 0
	s_mov_b64 s[0:1], 0
	v_mov_b32_e32 v24, 0
	s_mov_b64 s[20:21], s[18:19]
.LBB2_170:                              ;   Parent Loop BB2_4 Depth=1
                                        ;     Parent Loop BB2_119 Depth=2
                                        ; =>    This Inner Loop Header: Depth=3
	global_load_ubyte v1, v2, s[20:21]
	s_add_i32 s23, s23, -1
	s_waitcnt vmcnt(0)
	v_and_b32_e32 v1, 0xffff, v1
	v_lshlrev_b64 v[3:4], s0, v[1:2]
	s_add_u32 s0, s0, 8
	s_addc_u32 s1, s1, 0
	s_add_u32 s20, s20, 1
	s_addc_u32 s21, s21, 0
	v_or_b32_e32 v23, v3, v23
	s_cmp_lg_u32 s23, 0
	v_or_b32_e32 v24, v4, v24
	s_cbranch_scc1 .LBB2_170
	s_branch .LBB2_173
.LBB2_171:                              ;   in Loop: Header=BB2_119 Depth=2
	s_branch .LBB2_174
.LBB2_172:                              ;   in Loop: Header=BB2_119 Depth=2
	v_mov_b32_e32 v23, 0
	v_mov_b32_e32 v24, 0
.LBB2_173:                              ;   in Loop: Header=BB2_119 Depth=2
	s_cbranch_execnz .LBB2_175
.LBB2_174:                              ;   in Loop: Header=BB2_119 Depth=2
	global_load_dwordx2 v[23:24], v2, s[18:19]
.LBB2_175:                              ;   in Loop: Header=BB2_119 Depth=2
	v_readfirstlane_b32 s0, v31
	v_mov_b32_e32 v3, 0
	v_mov_b32_e32 v4, 0
	v_cmp_eq_u32_e64 s[0:1], s0, v31
	s_and_saveexec_b64 s[18:19], s[0:1]
	s_cbranch_execz .LBB2_181
; %bb.176:                              ;   in Loop: Header=BB2_119 Depth=2
	global_load_dwordx2 v[27:28], v2, s[2:3] offset:24 glc
	s_waitcnt vmcnt(0)
	buffer_wbinvl1_vol
	global_load_dwordx2 v[3:4], v2, s[2:3] offset:40
	global_load_dwordx2 v[25:26], v2, s[2:3]
	s_waitcnt vmcnt(1)
	v_and_b32_e32 v1, v3, v27
	v_and_b32_e32 v3, v4, v28
	v_mul_lo_u32 v3, v3, 24
	v_mul_hi_u32 v4, v1, 24
	v_mul_lo_u32 v1, v1, 24
	v_add_u32_e32 v4, v4, v3
	s_waitcnt vmcnt(0)
	v_add_co_u32_e32 v3, vcc, v25, v1
	v_addc_co_u32_e32 v4, vcc, v26, v4, vcc
	global_load_dwordx2 v[25:26], v[3:4], off glc
	s_waitcnt vmcnt(0)
	global_atomic_cmpswap_x2 v[3:4], v2, v[25:28], s[2:3] offset:24 glc
	s_waitcnt vmcnt(0)
	buffer_wbinvl1_vol
	v_cmp_ne_u64_e32 vcc, v[3:4], v[27:28]
	s_and_saveexec_b64 s[20:21], vcc
	s_cbranch_execz .LBB2_180
; %bb.177:                              ;   in Loop: Header=BB2_119 Depth=2
	s_mov_b64 s[22:23], 0
.LBB2_178:                              ;   Parent Loop BB2_4 Depth=1
                                        ;     Parent Loop BB2_119 Depth=2
                                        ; =>    This Inner Loop Header: Depth=3
	s_sleep 1
	global_load_dwordx2 v[25:26], v2, s[2:3] offset:40
	global_load_dwordx2 v[29:30], v2, s[2:3]
	v_mov_b32_e32 v28, v4
	v_mov_b32_e32 v27, v3
	s_waitcnt vmcnt(1)
	v_and_b32_e32 v1, v25, v27
	s_waitcnt vmcnt(0)
	v_mad_u64_u32 v[3:4], s[24:25], v1, 24, v[29:30]
	v_and_b32_e32 v25, v26, v28
	v_mov_b32_e32 v1, v4
	v_mad_u64_u32 v[25:26], s[24:25], v25, 24, v[1:2]
	v_mov_b32_e32 v4, v25
	global_load_dwordx2 v[25:26], v[3:4], off glc
	s_waitcnt vmcnt(0)
	global_atomic_cmpswap_x2 v[3:4], v2, v[25:28], s[2:3] offset:24 glc
	s_waitcnt vmcnt(0)
	buffer_wbinvl1_vol
	v_cmp_eq_u64_e32 vcc, v[3:4], v[27:28]
	s_or_b64 s[22:23], vcc, s[22:23]
	s_andn2_b64 exec, exec, s[22:23]
	s_cbranch_execnz .LBB2_178
; %bb.179:                              ;   in Loop: Header=BB2_119 Depth=2
	s_or_b64 exec, exec, s[22:23]
.LBB2_180:                              ;   in Loop: Header=BB2_119 Depth=2
	s_or_b64 exec, exec, s[20:21]
.LBB2_181:                              ;   in Loop: Header=BB2_119 Depth=2
	s_or_b64 exec, exec, s[18:19]
	global_load_dwordx2 v[29:30], v2, s[2:3] offset:40
	global_load_dwordx4 v[25:28], v2, s[2:3]
	v_readfirstlane_b32 s19, v4
	v_readfirstlane_b32 s18, v3
	s_mov_b64 s[20:21], exec
	s_waitcnt vmcnt(1)
	v_readfirstlane_b32 s22, v29
	v_readfirstlane_b32 s23, v30
	s_and_b64 s[22:23], s[22:23], s[18:19]
	s_mul_i32 s24, s23, 24
	s_mul_hi_u32 s25, s22, 24
	s_mul_i32 s30, s22, 24
	s_add_i32 s24, s25, s24
	v_mov_b32_e32 v1, s24
	s_waitcnt vmcnt(0)
	v_add_co_u32_e32 v29, vcc, s30, v25
	v_addc_co_u32_e32 v30, vcc, v26, v1, vcc
	s_and_saveexec_b64 s[24:25], s[0:1]
	s_cbranch_execz .LBB2_183
; %bb.182:                              ;   in Loop: Header=BB2_119 Depth=2
	v_mov_b32_e32 v3, s20
	v_mov_b32_e32 v4, s21
	global_store_dwordx4 v[29:30], v[3:6], off offset:8
.LBB2_183:                              ;   in Loop: Header=BB2_119 Depth=2
	s_or_b64 exec, exec, s[24:25]
	s_lshl_b64 s[20:21], s[22:23], 12
	v_cmp_gt_u64_e64 s[22:23], s[14:15], 56
	v_mov_b32_e32 v1, s21
	v_add_co_u32_e32 v27, vcc, s20, v27
	s_and_b64 s[20:21], s[22:23], exec
	s_cselect_b32 s20, 0, 2
	s_lshl_b32 s21, s16, 2
	v_addc_co_u32_e32 v28, vcc, v28, v1, vcc
	s_add_i32 s21, s21, 28
	v_and_b32_e32 v1, 0xffffff1f, v9
	s_and_b32 s21, s21, 0x1e0
	v_or_b32_e32 v1, s20, v1
	v_or_b32_e32 v9, s21, v1
	v_readfirstlane_b32 s20, v27
	v_readfirstlane_b32 s21, v28
	s_nop 4
	global_store_dwordx4 v32, v[9:12], s[20:21]
	global_store_dwordx4 v32, v[13:16], s[20:21] offset:16
	global_store_dwordx4 v32, v[17:20], s[20:21] offset:32
	;; [unrolled: 1-line block ×3, first 2 shown]
	s_and_saveexec_b64 s[20:21], s[0:1]
	s_cbranch_execz .LBB2_191
; %bb.184:                              ;   in Loop: Header=BB2_119 Depth=2
	global_load_dwordx2 v[13:14], v2, s[2:3] offset:32 glc
	global_load_dwordx2 v[3:4], v2, s[2:3] offset:40
	v_mov_b32_e32 v11, s18
	v_mov_b32_e32 v12, s19
	s_waitcnt vmcnt(0)
	v_readfirstlane_b32 s22, v3
	v_readfirstlane_b32 s23, v4
	s_and_b64 s[22:23], s[22:23], s[18:19]
	s_mul_i32 s23, s23, 24
	s_mul_hi_u32 s24, s22, 24
	s_mul_i32 s22, s22, 24
	s_add_i32 s23, s24, s23
	v_mov_b32_e32 v1, s23
	v_add_co_u32_e32 v3, vcc, s22, v25
	v_addc_co_u32_e32 v4, vcc, v26, v1, vcc
	global_store_dwordx2 v[3:4], v[13:14], off
	s_waitcnt vmcnt(0)
	global_atomic_cmpswap_x2 v[11:12], v2, v[11:14], s[2:3] offset:32 glc
	s_waitcnt vmcnt(0)
	v_cmp_ne_u64_e32 vcc, v[11:12], v[13:14]
	s_and_saveexec_b64 s[22:23], vcc
	s_cbranch_execz .LBB2_187
; %bb.185:                              ;   in Loop: Header=BB2_119 Depth=2
	s_mov_b64 s[24:25], 0
.LBB2_186:                              ;   Parent Loop BB2_4 Depth=1
                                        ;     Parent Loop BB2_119 Depth=2
                                        ; =>    This Inner Loop Header: Depth=3
	s_sleep 1
	global_store_dwordx2 v[3:4], v[11:12], off
	v_mov_b32_e32 v9, s18
	v_mov_b32_e32 v10, s19
	s_waitcnt vmcnt(0)
	global_atomic_cmpswap_x2 v[9:10], v2, v[9:12], s[2:3] offset:32 glc
	s_waitcnt vmcnt(0)
	v_cmp_eq_u64_e32 vcc, v[9:10], v[11:12]
	v_mov_b32_e32 v12, v10
	s_or_b64 s[24:25], vcc, s[24:25]
	v_mov_b32_e32 v11, v9
	s_andn2_b64 exec, exec, s[24:25]
	s_cbranch_execnz .LBB2_186
.LBB2_187:                              ;   in Loop: Header=BB2_119 Depth=2
	s_or_b64 exec, exec, s[22:23]
	global_load_dwordx2 v[3:4], v2, s[2:3] offset:16
	s_mov_b64 s[24:25], exec
	v_mbcnt_lo_u32_b32 v1, s24, 0
	v_mbcnt_hi_u32_b32 v1, s25, v1
	v_cmp_eq_u32_e32 vcc, 0, v1
	s_and_saveexec_b64 s[22:23], vcc
	s_cbranch_execz .LBB2_189
; %bb.188:                              ;   in Loop: Header=BB2_119 Depth=2
	s_bcnt1_i32_b64 s24, s[24:25]
	v_mov_b32_e32 v1, s24
	s_waitcnt vmcnt(0)
	global_atomic_add_x2 v[3:4], v[1:2], off offset:8
.LBB2_189:                              ;   in Loop: Header=BB2_119 Depth=2
	s_or_b64 exec, exec, s[22:23]
	s_waitcnt vmcnt(0)
	global_load_dwordx2 v[9:10], v[3:4], off offset:16
	s_waitcnt vmcnt(0)
	v_cmp_eq_u64_e32 vcc, 0, v[9:10]
	s_cbranch_vccnz .LBB2_191
; %bb.190:                              ;   in Loop: Header=BB2_119 Depth=2
	global_load_dword v1, v[3:4], off offset:24
	s_waitcnt vmcnt(0)
	v_readfirstlane_b32 s22, v1
	s_and_b32 m0, s22, 0xffffff
	global_store_dwordx2 v[9:10], v[1:2], off
	s_sendmsg sendmsg(MSG_INTERRUPT)
.LBB2_191:                              ;   in Loop: Header=BB2_119 Depth=2
	s_or_b64 exec, exec, s[20:21]
	v_add_co_u32_e32 v3, vcc, v27, v32
	v_addc_co_u32_e32 v4, vcc, 0, v28, vcc
	s_branch .LBB2_195
.LBB2_192:                              ;   in Loop: Header=BB2_195 Depth=3
	s_or_b64 exec, exec, s[20:21]
	v_readfirstlane_b32 s20, v1
	s_cmp_eq_u32 s20, 0
	s_cbranch_scc1 .LBB2_194
; %bb.193:                              ;   in Loop: Header=BB2_195 Depth=3
	s_sleep 1
	s_cbranch_execnz .LBB2_195
	s_branch .LBB2_197
.LBB2_194:                              ;   in Loop: Header=BB2_119 Depth=2
	s_branch .LBB2_197
.LBB2_195:                              ;   Parent Loop BB2_4 Depth=1
                                        ;     Parent Loop BB2_119 Depth=2
                                        ; =>    This Inner Loop Header: Depth=3
	v_mov_b32_e32 v1, 1
	s_and_saveexec_b64 s[20:21], s[0:1]
	s_cbranch_execz .LBB2_192
; %bb.196:                              ;   in Loop: Header=BB2_195 Depth=3
	global_load_dword v1, v[29:30], off offset:20 glc
	s_waitcnt vmcnt(0)
	buffer_wbinvl1_vol
	v_and_b32_e32 v1, 1, v1
	s_branch .LBB2_192
.LBB2_197:                              ;   in Loop: Header=BB2_119 Depth=2
	global_load_dwordx4 v[9:12], v[3:4], off
	s_and_saveexec_b64 s[20:21], s[0:1]
	s_cbranch_execz .LBB2_118
; %bb.198:                              ;   in Loop: Header=BB2_119 Depth=2
	global_load_dwordx2 v[3:4], v2, s[2:3] offset:40
	global_load_dwordx2 v[15:16], v2, s[2:3] offset:24 glc
	global_load_dwordx2 v[11:12], v2, s[2:3]
	s_waitcnt vmcnt(2)
	v_readfirstlane_b32 s22, v3
	v_readfirstlane_b32 s23, v4
	s_add_u32 s24, s22, 1
	s_addc_u32 s25, s23, 0
	s_add_u32 s0, s24, s18
	s_addc_u32 s1, s25, s19
	s_cmp_eq_u64 s[0:1], 0
	s_cselect_b32 s1, s25, s1
	s_cselect_b32 s0, s24, s0
	s_and_b64 s[18:19], s[0:1], s[22:23]
	s_mul_i32 s19, s19, 24
	s_mul_hi_u32 s22, s18, 24
	s_mul_i32 s18, s18, 24
	s_add_i32 s19, s22, s19
	v_mov_b32_e32 v1, s19
	s_waitcnt vmcnt(0)
	v_add_co_u32_e32 v3, vcc, s18, v11
	v_addc_co_u32_e32 v4, vcc, v12, v1, vcc
	v_mov_b32_e32 v13, s0
	global_store_dwordx2 v[3:4], v[15:16], off
	v_mov_b32_e32 v14, s1
	s_waitcnt vmcnt(0)
	global_atomic_cmpswap_x2 v[13:14], v2, v[13:16], s[2:3] offset:24 glc
	s_waitcnt vmcnt(0)
	v_cmp_ne_u64_e32 vcc, v[13:14], v[15:16]
	s_and_b64 exec, exec, vcc
	s_cbranch_execz .LBB2_118
; %bb.199:                              ;   in Loop: Header=BB2_119 Depth=2
	s_mov_b64 s[18:19], 0
.LBB2_200:                              ;   Parent Loop BB2_4 Depth=1
                                        ;     Parent Loop BB2_119 Depth=2
                                        ; =>    This Inner Loop Header: Depth=3
	s_sleep 1
	global_store_dwordx2 v[3:4], v[13:14], off
	v_mov_b32_e32 v11, s0
	v_mov_b32_e32 v12, s1
	s_waitcnt vmcnt(0)
	global_atomic_cmpswap_x2 v[11:12], v2, v[11:14], s[2:3] offset:24 glc
	s_waitcnt vmcnt(0)
	v_cmp_eq_u64_e32 vcc, v[11:12], v[13:14]
	v_mov_b32_e32 v14, v12
	s_or_b64 s[18:19], vcc, s[18:19]
	v_mov_b32_e32 v13, v11
	s_andn2_b64 exec, exec, s[18:19]
	s_cbranch_execnz .LBB2_200
	s_branch .LBB2_118
.LBB2_201:                              ;   in Loop: Header=BB2_4 Depth=1
	s_branch .LBB2_3
.LBB2_202:                              ;   in Loop: Header=BB2_4 Depth=1
                                        ; implicit-def: $vgpr7_vgpr8
	s_cbranch_execz .LBB2_116
; %bb.203:                              ;   in Loop: Header=BB2_4 Depth=1
	v_readfirstlane_b32 s0, v31
	v_mov_b32_e32 v3, 0
	v_mov_b32_e32 v4, 0
	v_cmp_eq_u32_e64 s[0:1], s0, v31
	s_and_saveexec_b64 s[12:13], s[0:1]
	s_cbranch_execz .LBB2_209
; %bb.204:                              ;   in Loop: Header=BB2_4 Depth=1
	global_load_dwordx2 v[9:10], v2, s[2:3] offset:24 glc
	s_waitcnt vmcnt(0)
	buffer_wbinvl1_vol
	global_load_dwordx2 v[3:4], v2, s[2:3] offset:40
	global_load_dwordx2 v[7:8], v2, s[2:3]
	s_waitcnt vmcnt(1)
	v_and_b32_e32 v1, v3, v9
	v_and_b32_e32 v3, v4, v10
	v_mul_lo_u32 v3, v3, 24
	v_mul_hi_u32 v4, v1, 24
	v_mul_lo_u32 v1, v1, 24
	v_add_u32_e32 v4, v4, v3
	s_waitcnt vmcnt(0)
	v_add_co_u32_e32 v3, vcc, v7, v1
	v_addc_co_u32_e32 v4, vcc, v8, v4, vcc
	global_load_dwordx2 v[7:8], v[3:4], off glc
	s_waitcnt vmcnt(0)
	global_atomic_cmpswap_x2 v[3:4], v2, v[7:10], s[2:3] offset:24 glc
	s_waitcnt vmcnt(0)
	buffer_wbinvl1_vol
	v_cmp_ne_u64_e32 vcc, v[3:4], v[9:10]
	s_and_saveexec_b64 s[14:15], vcc
	s_cbranch_execz .LBB2_208
; %bb.205:                              ;   in Loop: Header=BB2_4 Depth=1
	s_mov_b64 s[16:17], 0
.LBB2_206:                              ;   Parent Loop BB2_4 Depth=1
                                        ; =>  This Inner Loop Header: Depth=2
	s_sleep 1
	global_load_dwordx2 v[7:8], v2, s[2:3] offset:40
	global_load_dwordx2 v[13:14], v2, s[2:3]
	v_mov_b32_e32 v10, v4
	v_mov_b32_e32 v9, v3
	s_waitcnt vmcnt(1)
	v_and_b32_e32 v1, v7, v9
	s_waitcnt vmcnt(0)
	v_mad_u64_u32 v[3:4], s[18:19], v1, 24, v[13:14]
	v_and_b32_e32 v7, v8, v10
	v_mov_b32_e32 v1, v4
	v_mad_u64_u32 v[7:8], s[18:19], v7, 24, v[1:2]
	v_mov_b32_e32 v4, v7
	global_load_dwordx2 v[7:8], v[3:4], off glc
	s_waitcnt vmcnt(0)
	global_atomic_cmpswap_x2 v[3:4], v2, v[7:10], s[2:3] offset:24 glc
	s_waitcnt vmcnt(0)
	buffer_wbinvl1_vol
	v_cmp_eq_u64_e32 vcc, v[3:4], v[9:10]
	s_or_b64 s[16:17], vcc, s[16:17]
	s_andn2_b64 exec, exec, s[16:17]
	s_cbranch_execnz .LBB2_206
; %bb.207:                              ;   in Loop: Header=BB2_4 Depth=1
	s_or_b64 exec, exec, s[16:17]
.LBB2_208:                              ;   in Loop: Header=BB2_4 Depth=1
	s_or_b64 exec, exec, s[14:15]
.LBB2_209:                              ;   in Loop: Header=BB2_4 Depth=1
	s_or_b64 exec, exec, s[12:13]
	global_load_dwordx2 v[13:14], v2, s[2:3] offset:40
	global_load_dwordx4 v[7:10], v2, s[2:3]
	v_readfirstlane_b32 s13, v4
	v_readfirstlane_b32 s12, v3
	s_mov_b64 s[14:15], exec
	s_waitcnt vmcnt(1)
	v_readfirstlane_b32 s16, v13
	v_readfirstlane_b32 s17, v14
	s_and_b64 s[16:17], s[16:17], s[12:13]
	s_mul_i32 s18, s17, 24
	s_mul_hi_u32 s19, s16, 24
	s_mul_i32 s20, s16, 24
	s_add_i32 s18, s19, s18
	v_mov_b32_e32 v1, s18
	s_waitcnt vmcnt(0)
	v_add_co_u32_e32 v15, vcc, s20, v7
	v_addc_co_u32_e32 v16, vcc, v8, v1, vcc
	s_and_saveexec_b64 s[18:19], s[0:1]
	s_cbranch_execz .LBB2_211
; %bb.210:                              ;   in Loop: Header=BB2_4 Depth=1
	v_mov_b32_e32 v3, s14
	v_mov_b32_e32 v4, s15
	global_store_dwordx4 v[15:16], v[3:6], off offset:8
.LBB2_211:                              ;   in Loop: Header=BB2_4 Depth=1
	s_or_b64 exec, exec, s[18:19]
	s_lshl_b64 s[14:15], s[16:17], 12
	v_mov_b32_e32 v1, s15
	v_add_co_u32_e32 v17, vcc, s14, v9
	v_addc_co_u32_e32 v18, vcc, v10, v1, vcc
	v_and_or_b32 v11, v11, s27, 32
	v_mov_b32_e32 v13, v2
	v_mov_b32_e32 v14, v2
	v_readfirstlane_b32 s14, v17
	v_readfirstlane_b32 s15, v18
	s_nop 4
	global_store_dwordx4 v32, v[11:14], s[14:15]
	s_nop 0
	v_mov_b32_e32 v12, s7
	v_mov_b32_e32 v11, s6
	;; [unrolled: 1-line block ×4, first 2 shown]
	global_store_dwordx4 v32, v[9:12], s[14:15] offset:16
	global_store_dwordx4 v32, v[9:12], s[14:15] offset:32
	;; [unrolled: 1-line block ×3, first 2 shown]
	s_and_saveexec_b64 s[14:15], s[0:1]
	s_cbranch_execz .LBB2_219
; %bb.212:                              ;   in Loop: Header=BB2_4 Depth=1
	global_load_dwordx2 v[11:12], v2, s[2:3] offset:32 glc
	global_load_dwordx2 v[3:4], v2, s[2:3] offset:40
	v_mov_b32_e32 v9, s12
	v_mov_b32_e32 v10, s13
	s_waitcnt vmcnt(0)
	v_readfirstlane_b32 s16, v3
	v_readfirstlane_b32 s17, v4
	s_and_b64 s[16:17], s[16:17], s[12:13]
	s_mul_i32 s17, s17, 24
	s_mul_hi_u32 s18, s16, 24
	s_mul_i32 s16, s16, 24
	s_add_i32 s17, s18, s17
	v_mov_b32_e32 v1, s17
	v_add_co_u32_e32 v3, vcc, s16, v7
	v_addc_co_u32_e32 v4, vcc, v8, v1, vcc
	global_store_dwordx2 v[3:4], v[11:12], off
	s_waitcnt vmcnt(0)
	global_atomic_cmpswap_x2 v[9:10], v2, v[9:12], s[2:3] offset:32 glc
	s_waitcnt vmcnt(0)
	v_cmp_ne_u64_e32 vcc, v[9:10], v[11:12]
	s_and_saveexec_b64 s[16:17], vcc
	s_cbranch_execz .LBB2_215
; %bb.213:                              ;   in Loop: Header=BB2_4 Depth=1
	s_mov_b64 s[18:19], 0
.LBB2_214:                              ;   Parent Loop BB2_4 Depth=1
                                        ; =>  This Inner Loop Header: Depth=2
	s_sleep 1
	global_store_dwordx2 v[3:4], v[9:10], off
	v_mov_b32_e32 v7, s12
	v_mov_b32_e32 v8, s13
	s_waitcnt vmcnt(0)
	global_atomic_cmpswap_x2 v[7:8], v2, v[7:10], s[2:3] offset:32 glc
	s_waitcnt vmcnt(0)
	v_cmp_eq_u64_e32 vcc, v[7:8], v[9:10]
	v_mov_b32_e32 v10, v8
	s_or_b64 s[18:19], vcc, s[18:19]
	v_mov_b32_e32 v9, v7
	s_andn2_b64 exec, exec, s[18:19]
	s_cbranch_execnz .LBB2_214
.LBB2_215:                              ;   in Loop: Header=BB2_4 Depth=1
	s_or_b64 exec, exec, s[16:17]
	global_load_dwordx2 v[3:4], v2, s[2:3] offset:16
	s_mov_b64 s[18:19], exec
	v_mbcnt_lo_u32_b32 v1, s18, 0
	v_mbcnt_hi_u32_b32 v1, s19, v1
	v_cmp_eq_u32_e32 vcc, 0, v1
	s_and_saveexec_b64 s[16:17], vcc
	s_cbranch_execz .LBB2_217
; %bb.216:                              ;   in Loop: Header=BB2_4 Depth=1
	s_bcnt1_i32_b64 s18, s[18:19]
	v_mov_b32_e32 v1, s18
	s_waitcnt vmcnt(0)
	global_atomic_add_x2 v[3:4], v[1:2], off offset:8
.LBB2_217:                              ;   in Loop: Header=BB2_4 Depth=1
	s_or_b64 exec, exec, s[16:17]
	s_waitcnt vmcnt(0)
	global_load_dwordx2 v[7:8], v[3:4], off offset:16
	s_waitcnt vmcnt(0)
	v_cmp_eq_u64_e32 vcc, 0, v[7:8]
	s_cbranch_vccnz .LBB2_219
; %bb.218:                              ;   in Loop: Header=BB2_4 Depth=1
	global_load_dword v1, v[3:4], off offset:24
	s_waitcnt vmcnt(0)
	v_readfirstlane_b32 s16, v1
	s_and_b32 m0, s16, 0xffffff
	global_store_dwordx2 v[7:8], v[1:2], off
	s_sendmsg sendmsg(MSG_INTERRUPT)
.LBB2_219:                              ;   in Loop: Header=BB2_4 Depth=1
	s_or_b64 exec, exec, s[14:15]
	v_add_co_u32_e32 v3, vcc, v17, v32
	v_addc_co_u32_e32 v4, vcc, 0, v18, vcc
	s_branch .LBB2_223
.LBB2_220:                              ;   in Loop: Header=BB2_223 Depth=2
	s_or_b64 exec, exec, s[14:15]
	v_readfirstlane_b32 s14, v1
	s_cmp_eq_u32 s14, 0
	s_cbranch_scc1 .LBB2_222
; %bb.221:                              ;   in Loop: Header=BB2_223 Depth=2
	s_sleep 1
	s_cbranch_execnz .LBB2_223
	s_branch .LBB2_225
.LBB2_222:                              ;   in Loop: Header=BB2_4 Depth=1
	s_branch .LBB2_225
.LBB2_223:                              ;   Parent Loop BB2_4 Depth=1
                                        ; =>  This Inner Loop Header: Depth=2
	v_mov_b32_e32 v1, 1
	s_and_saveexec_b64 s[14:15], s[0:1]
	s_cbranch_execz .LBB2_220
; %bb.224:                              ;   in Loop: Header=BB2_223 Depth=2
	global_load_dword v1, v[15:16], off offset:20 glc
	s_waitcnt vmcnt(0)
	buffer_wbinvl1_vol
	v_and_b32_e32 v1, 1, v1
	s_branch .LBB2_220
.LBB2_225:                              ;   in Loop: Header=BB2_4 Depth=1
	global_load_dwordx2 v[7:8], v[3:4], off
	s_and_saveexec_b64 s[14:15], s[0:1]
	s_cbranch_execz .LBB2_229
; %bb.226:                              ;   in Loop: Header=BB2_4 Depth=1
	global_load_dwordx2 v[3:4], v2, s[2:3] offset:40
	global_load_dwordx2 v[13:14], v2, s[2:3] offset:24 glc
	global_load_dwordx2 v[9:10], v2, s[2:3]
	s_waitcnt vmcnt(2)
	v_readfirstlane_b32 s16, v3
	v_readfirstlane_b32 s17, v4
	s_add_u32 s18, s16, 1
	s_addc_u32 s19, s17, 0
	s_add_u32 s0, s18, s12
	s_addc_u32 s1, s19, s13
	s_cmp_eq_u64 s[0:1], 0
	s_cselect_b32 s1, s19, s1
	s_cselect_b32 s0, s18, s0
	s_and_b64 s[12:13], s[0:1], s[16:17]
	s_mul_i32 s13, s13, 24
	s_mul_hi_u32 s16, s12, 24
	s_mul_i32 s12, s12, 24
	s_add_i32 s13, s16, s13
	v_mov_b32_e32 v1, s13
	s_waitcnt vmcnt(0)
	v_add_co_u32_e32 v3, vcc, s12, v9
	v_addc_co_u32_e32 v4, vcc, v10, v1, vcc
	v_mov_b32_e32 v11, s0
	global_store_dwordx2 v[3:4], v[13:14], off
	v_mov_b32_e32 v12, s1
	s_waitcnt vmcnt(0)
	global_atomic_cmpswap_x2 v[11:12], v2, v[11:14], s[2:3] offset:24 glc
	s_waitcnt vmcnt(0)
	v_cmp_ne_u64_e32 vcc, v[11:12], v[13:14]
	s_and_b64 exec, exec, vcc
	s_cbranch_execz .LBB2_229
; %bb.227:                              ;   in Loop: Header=BB2_4 Depth=1
	s_mov_b64 s[12:13], 0
.LBB2_228:                              ;   Parent Loop BB2_4 Depth=1
                                        ; =>  This Inner Loop Header: Depth=2
	s_sleep 1
	global_store_dwordx2 v[3:4], v[11:12], off
	v_mov_b32_e32 v9, s0
	v_mov_b32_e32 v10, s1
	s_waitcnt vmcnt(0)
	global_atomic_cmpswap_x2 v[9:10], v2, v[9:12], s[2:3] offset:24 glc
	s_waitcnt vmcnt(0)
	v_cmp_eq_u64_e32 vcc, v[9:10], v[11:12]
	v_mov_b32_e32 v12, v10
	s_or_b64 s[12:13], vcc, s[12:13]
	v_mov_b32_e32 v11, v9
	s_andn2_b64 exec, exec, s[12:13]
	s_cbranch_execnz .LBB2_228
.LBB2_229:                              ;   in Loop: Header=BB2_4 Depth=1
	s_or_b64 exec, exec, s[14:15]
	s_and_b64 vcc, exec, s[10:11]
	s_cbranch_vccnz .LBB2_117
.LBB2_230:                              ;   in Loop: Header=BB2_4 Depth=1
	s_cbranch_execz .LBB2_3
; %bb.231:                              ;   in Loop: Header=BB2_4 Depth=1
	v_readfirstlane_b32 s0, v31
	v_mov_b32_e32 v3, 0
	v_mov_b32_e32 v4, 0
	v_cmp_eq_u32_e64 s[0:1], s0, v31
	s_and_saveexec_b64 s[12:13], s[0:1]
	s_cbranch_execz .LBB2_237
; %bb.232:                              ;   in Loop: Header=BB2_4 Depth=1
	global_load_dwordx2 v[11:12], v2, s[2:3] offset:24 glc
	s_waitcnt vmcnt(0)
	buffer_wbinvl1_vol
	global_load_dwordx2 v[3:4], v2, s[2:3] offset:40
	global_load_dwordx2 v[9:10], v2, s[2:3]
	s_waitcnt vmcnt(1)
	v_and_b32_e32 v1, v3, v11
	v_and_b32_e32 v3, v4, v12
	v_mul_lo_u32 v3, v3, 24
	v_mul_hi_u32 v4, v1, 24
	v_mul_lo_u32 v1, v1, 24
	v_add_u32_e32 v4, v4, v3
	s_waitcnt vmcnt(0)
	v_add_co_u32_e32 v3, vcc, v9, v1
	v_addc_co_u32_e32 v4, vcc, v10, v4, vcc
	global_load_dwordx2 v[9:10], v[3:4], off glc
	s_waitcnt vmcnt(0)
	global_atomic_cmpswap_x2 v[3:4], v2, v[9:12], s[2:3] offset:24 glc
	s_waitcnt vmcnt(0)
	buffer_wbinvl1_vol
	v_cmp_ne_u64_e32 vcc, v[3:4], v[11:12]
	s_and_saveexec_b64 s[14:15], vcc
	s_cbranch_execz .LBB2_236
; %bb.233:                              ;   in Loop: Header=BB2_4 Depth=1
	s_mov_b64 s[16:17], 0
.LBB2_234:                              ;   Parent Loop BB2_4 Depth=1
                                        ; =>  This Inner Loop Header: Depth=2
	s_sleep 1
	global_load_dwordx2 v[9:10], v2, s[2:3] offset:40
	global_load_dwordx2 v[13:14], v2, s[2:3]
	v_mov_b32_e32 v12, v4
	v_mov_b32_e32 v11, v3
	s_waitcnt vmcnt(1)
	v_and_b32_e32 v1, v9, v11
	s_waitcnt vmcnt(0)
	v_mad_u64_u32 v[3:4], s[18:19], v1, 24, v[13:14]
	v_and_b32_e32 v9, v10, v12
	v_mov_b32_e32 v1, v4
	v_mad_u64_u32 v[9:10], s[18:19], v9, 24, v[1:2]
	v_mov_b32_e32 v4, v9
	global_load_dwordx2 v[9:10], v[3:4], off glc
	s_waitcnt vmcnt(0)
	global_atomic_cmpswap_x2 v[3:4], v2, v[9:12], s[2:3] offset:24 glc
	s_waitcnt vmcnt(0)
	buffer_wbinvl1_vol
	v_cmp_eq_u64_e32 vcc, v[3:4], v[11:12]
	s_or_b64 s[16:17], vcc, s[16:17]
	s_andn2_b64 exec, exec, s[16:17]
	s_cbranch_execnz .LBB2_234
; %bb.235:                              ;   in Loop: Header=BB2_4 Depth=1
	s_or_b64 exec, exec, s[16:17]
.LBB2_236:                              ;   in Loop: Header=BB2_4 Depth=1
	s_or_b64 exec, exec, s[14:15]
.LBB2_237:                              ;   in Loop: Header=BB2_4 Depth=1
	s_or_b64 exec, exec, s[12:13]
	global_load_dwordx2 v[9:10], v2, s[2:3] offset:40
	global_load_dwordx4 v[11:14], v2, s[2:3]
	v_readfirstlane_b32 s13, v4
	v_readfirstlane_b32 s12, v3
	s_mov_b64 s[14:15], exec
	s_waitcnt vmcnt(1)
	v_readfirstlane_b32 s16, v9
	v_readfirstlane_b32 s17, v10
	s_and_b64 s[16:17], s[16:17], s[12:13]
	s_mul_i32 s18, s17, 24
	s_mul_hi_u32 s19, s16, 24
	s_mul_i32 s20, s16, 24
	s_add_i32 s18, s19, s18
	v_mov_b32_e32 v1, s18
	s_waitcnt vmcnt(0)
	v_add_co_u32_e32 v15, vcc, s20, v11
	v_addc_co_u32_e32 v16, vcc, v12, v1, vcc
	s_and_saveexec_b64 s[18:19], s[0:1]
	s_cbranch_execz .LBB2_239
; %bb.238:                              ;   in Loop: Header=BB2_4 Depth=1
	v_mov_b32_e32 v3, s14
	v_mov_b32_e32 v4, s15
	global_store_dwordx4 v[15:16], v[3:6], off offset:8
.LBB2_239:                              ;   in Loop: Header=BB2_4 Depth=1
	s_or_b64 exec, exec, s[18:19]
	s_lshl_b64 s[14:15], s[16:17], 12
	v_mov_b32_e32 v1, s15
	v_add_co_u32_e32 v3, vcc, s14, v13
	v_addc_co_u32_e32 v1, vcc, v14, v1, vcc
	v_and_or_b32 v7, v7, s28, 34
	v_mov_b32_e32 v9, v2
	v_mov_b32_e32 v10, v2
	v_readfirstlane_b32 s14, v3
	v_readfirstlane_b32 s15, v1
	s_nop 4
	global_store_dwordx4 v32, v[7:10], s[14:15]
	s_nop 0
	v_mov_b32_e32 v10, s7
	v_mov_b32_e32 v9, s6
	;; [unrolled: 1-line block ×4, first 2 shown]
	global_store_dwordx4 v32, v[7:10], s[14:15] offset:16
	global_store_dwordx4 v32, v[7:10], s[14:15] offset:32
	;; [unrolled: 1-line block ×3, first 2 shown]
	s_and_saveexec_b64 s[14:15], s[0:1]
	s_cbranch_execz .LBB2_247
; %bb.240:                              ;   in Loop: Header=BB2_4 Depth=1
	global_load_dwordx2 v[19:20], v2, s[2:3] offset:32 glc
	global_load_dwordx2 v[3:4], v2, s[2:3] offset:40
	v_mov_b32_e32 v17, s12
	v_mov_b32_e32 v18, s13
	s_waitcnt vmcnt(0)
	v_readfirstlane_b32 s16, v3
	v_readfirstlane_b32 s17, v4
	s_and_b64 s[16:17], s[16:17], s[12:13]
	s_mul_i32 s17, s17, 24
	s_mul_hi_u32 s18, s16, 24
	s_mul_i32 s16, s16, 24
	s_add_i32 s17, s18, s17
	v_mov_b32_e32 v1, s17
	v_add_co_u32_e32 v3, vcc, s16, v11
	v_addc_co_u32_e32 v4, vcc, v12, v1, vcc
	global_store_dwordx2 v[3:4], v[19:20], off
	s_waitcnt vmcnt(0)
	global_atomic_cmpswap_x2 v[9:10], v2, v[17:20], s[2:3] offset:32 glc
	s_waitcnt vmcnt(0)
	v_cmp_ne_u64_e32 vcc, v[9:10], v[19:20]
	s_and_saveexec_b64 s[16:17], vcc
	s_cbranch_execz .LBB2_243
; %bb.241:                              ;   in Loop: Header=BB2_4 Depth=1
	s_mov_b64 s[18:19], 0
.LBB2_242:                              ;   Parent Loop BB2_4 Depth=1
                                        ; =>  This Inner Loop Header: Depth=2
	s_sleep 1
	global_store_dwordx2 v[3:4], v[9:10], off
	v_mov_b32_e32 v7, s12
	v_mov_b32_e32 v8, s13
	s_waitcnt vmcnt(0)
	global_atomic_cmpswap_x2 v[7:8], v2, v[7:10], s[2:3] offset:32 glc
	s_waitcnt vmcnt(0)
	v_cmp_eq_u64_e32 vcc, v[7:8], v[9:10]
	v_mov_b32_e32 v10, v8
	s_or_b64 s[18:19], vcc, s[18:19]
	v_mov_b32_e32 v9, v7
	s_andn2_b64 exec, exec, s[18:19]
	s_cbranch_execnz .LBB2_242
.LBB2_243:                              ;   in Loop: Header=BB2_4 Depth=1
	s_or_b64 exec, exec, s[16:17]
	global_load_dwordx2 v[3:4], v2, s[2:3] offset:16
	s_mov_b64 s[18:19], exec
	v_mbcnt_lo_u32_b32 v1, s18, 0
	v_mbcnt_hi_u32_b32 v1, s19, v1
	v_cmp_eq_u32_e32 vcc, 0, v1
	s_and_saveexec_b64 s[16:17], vcc
	s_cbranch_execz .LBB2_245
; %bb.244:                              ;   in Loop: Header=BB2_4 Depth=1
	s_bcnt1_i32_b64 s18, s[18:19]
	v_mov_b32_e32 v1, s18
	s_waitcnt vmcnt(0)
	global_atomic_add_x2 v[3:4], v[1:2], off offset:8
.LBB2_245:                              ;   in Loop: Header=BB2_4 Depth=1
	s_or_b64 exec, exec, s[16:17]
	s_waitcnt vmcnt(0)
	global_load_dwordx2 v[7:8], v[3:4], off offset:16
	s_waitcnt vmcnt(0)
	v_cmp_eq_u64_e32 vcc, 0, v[7:8]
	s_cbranch_vccnz .LBB2_247
; %bb.246:                              ;   in Loop: Header=BB2_4 Depth=1
	global_load_dword v1, v[3:4], off offset:24
	s_waitcnt vmcnt(0)
	v_readfirstlane_b32 s16, v1
	s_and_b32 m0, s16, 0xffffff
	global_store_dwordx2 v[7:8], v[1:2], off
	s_sendmsg sendmsg(MSG_INTERRUPT)
.LBB2_247:                              ;   in Loop: Header=BB2_4 Depth=1
	s_or_b64 exec, exec, s[14:15]
	s_branch .LBB2_251
.LBB2_248:                              ;   in Loop: Header=BB2_251 Depth=2
	s_or_b64 exec, exec, s[14:15]
	v_readfirstlane_b32 s14, v1
	s_cmp_eq_u32 s14, 0
	s_cbranch_scc1 .LBB2_250
; %bb.249:                              ;   in Loop: Header=BB2_251 Depth=2
	s_sleep 1
	s_cbranch_execnz .LBB2_251
	s_branch .LBB2_253
.LBB2_250:                              ;   in Loop: Header=BB2_4 Depth=1
	s_branch .LBB2_253
.LBB2_251:                              ;   Parent Loop BB2_4 Depth=1
                                        ; =>  This Inner Loop Header: Depth=2
	v_mov_b32_e32 v1, 1
	s_and_saveexec_b64 s[14:15], s[0:1]
	s_cbranch_execz .LBB2_248
; %bb.252:                              ;   in Loop: Header=BB2_251 Depth=2
	global_load_dword v1, v[15:16], off offset:20 glc
	s_waitcnt vmcnt(0)
	buffer_wbinvl1_vol
	v_and_b32_e32 v1, 1, v1
	s_branch .LBB2_248
.LBB2_253:                              ;   in Loop: Header=BB2_4 Depth=1
	s_and_saveexec_b64 s[14:15], s[0:1]
	s_cbranch_execz .LBB2_2
; %bb.254:                              ;   in Loop: Header=BB2_4 Depth=1
	global_load_dwordx2 v[3:4], v2, s[2:3] offset:40
	global_load_dwordx2 v[11:12], v2, s[2:3] offset:24 glc
	global_load_dwordx2 v[7:8], v2, s[2:3]
	s_waitcnt vmcnt(2)
	v_readfirstlane_b32 s16, v3
	v_readfirstlane_b32 s17, v4
	s_add_u32 s18, s16, 1
	s_addc_u32 s19, s17, 0
	s_add_u32 s0, s18, s12
	s_addc_u32 s1, s19, s13
	s_cmp_eq_u64 s[0:1], 0
	s_cselect_b32 s1, s19, s1
	s_cselect_b32 s0, s18, s0
	s_and_b64 s[12:13], s[0:1], s[16:17]
	s_mul_i32 s13, s13, 24
	s_mul_hi_u32 s16, s12, 24
	s_mul_i32 s12, s12, 24
	s_add_i32 s13, s16, s13
	v_mov_b32_e32 v1, s13
	s_waitcnt vmcnt(0)
	v_add_co_u32_e32 v3, vcc, s12, v7
	v_addc_co_u32_e32 v4, vcc, v8, v1, vcc
	v_mov_b32_e32 v9, s0
	global_store_dwordx2 v[3:4], v[11:12], off
	v_mov_b32_e32 v10, s1
	s_waitcnt vmcnt(0)
	global_atomic_cmpswap_x2 v[9:10], v2, v[9:12], s[2:3] offset:24 glc
	s_waitcnt vmcnt(0)
	v_cmp_ne_u64_e32 vcc, v[9:10], v[11:12]
	s_and_b64 exec, exec, vcc
	s_cbranch_execz .LBB2_2
; %bb.255:                              ;   in Loop: Header=BB2_4 Depth=1
	s_mov_b64 s[12:13], 0
.LBB2_256:                              ;   Parent Loop BB2_4 Depth=1
                                        ; =>  This Inner Loop Header: Depth=2
	s_sleep 1
	global_store_dwordx2 v[3:4], v[9:10], off
	v_mov_b32_e32 v7, s0
	v_mov_b32_e32 v8, s1
	s_waitcnt vmcnt(0)
	global_atomic_cmpswap_x2 v[7:8], v2, v[7:10], s[2:3] offset:24 glc
	s_waitcnt vmcnt(0)
	v_cmp_eq_u64_e32 vcc, v[7:8], v[9:10]
	v_mov_b32_e32 v10, v8
	s_or_b64 s[12:13], vcc, s[12:13]
	v_mov_b32_e32 v9, v7
	s_andn2_b64 exec, exec, s[12:13]
	s_cbranch_execnz .LBB2_256
	s_branch .LBB2_2
.LBB2_257:
	s_endpgm
	.section	.rodata,"a",@progbits
	.p2align	6, 0x0
	.amdhsa_kernel _ZN19hipPrintfStressTest35kernel_printf_single_conditionalstrEj
		.amdhsa_group_segment_fixed_size 0
		.amdhsa_private_segment_fixed_size 0
		.amdhsa_kernarg_size 264
		.amdhsa_user_sgpr_count 6
		.amdhsa_user_sgpr_private_segment_buffer 1
		.amdhsa_user_sgpr_dispatch_ptr 0
		.amdhsa_user_sgpr_queue_ptr 0
		.amdhsa_user_sgpr_kernarg_segment_ptr 1
		.amdhsa_user_sgpr_dispatch_id 0
		.amdhsa_user_sgpr_flat_scratch_init 0
		.amdhsa_user_sgpr_private_segment_size 0
		.amdhsa_uses_dynamic_stack 0
		.amdhsa_system_sgpr_private_segment_wavefront_offset 0
		.amdhsa_system_sgpr_workgroup_id_x 1
		.amdhsa_system_sgpr_workgroup_id_y 0
		.amdhsa_system_sgpr_workgroup_id_z 0
		.amdhsa_system_sgpr_workgroup_info 0
		.amdhsa_system_vgpr_workitem_id 0
		.amdhsa_next_free_vgpr 33
		.amdhsa_next_free_sgpr 31
		.amdhsa_reserve_vcc 1
		.amdhsa_reserve_flat_scratch 0
		.amdhsa_float_round_mode_32 0
		.amdhsa_float_round_mode_16_64 0
		.amdhsa_float_denorm_mode_32 3
		.amdhsa_float_denorm_mode_16_64 3
		.amdhsa_dx10_clamp 1
		.amdhsa_ieee_mode 1
		.amdhsa_fp16_overflow 0
		.amdhsa_exception_fp_ieee_invalid_op 0
		.amdhsa_exception_fp_denorm_src 0
		.amdhsa_exception_fp_ieee_div_zero 0
		.amdhsa_exception_fp_ieee_overflow 0
		.amdhsa_exception_fp_ieee_underflow 0
		.amdhsa_exception_fp_ieee_inexact 0
		.amdhsa_exception_int_div_zero 0
	.end_amdhsa_kernel
	.text
.Lfunc_end2:
	.size	_ZN19hipPrintfStressTest35kernel_printf_single_conditionalstrEj, .Lfunc_end2-_ZN19hipPrintfStressTest35kernel_printf_single_conditionalstrEj
                                        ; -- End function
	.set _ZN19hipPrintfStressTest35kernel_printf_single_conditionalstrEj.num_vgpr, 33
	.set _ZN19hipPrintfStressTest35kernel_printf_single_conditionalstrEj.num_agpr, 0
	.set _ZN19hipPrintfStressTest35kernel_printf_single_conditionalstrEj.numbered_sgpr, 31
	.set _ZN19hipPrintfStressTest35kernel_printf_single_conditionalstrEj.num_named_barrier, 0
	.set _ZN19hipPrintfStressTest35kernel_printf_single_conditionalstrEj.private_seg_size, 0
	.set _ZN19hipPrintfStressTest35kernel_printf_single_conditionalstrEj.uses_vcc, 1
	.set _ZN19hipPrintfStressTest35kernel_printf_single_conditionalstrEj.uses_flat_scratch, 0
	.set _ZN19hipPrintfStressTest35kernel_printf_single_conditionalstrEj.has_dyn_sized_stack, 0
	.set _ZN19hipPrintfStressTest35kernel_printf_single_conditionalstrEj.has_recursion, 0
	.set _ZN19hipPrintfStressTest35kernel_printf_single_conditionalstrEj.has_indirect_call, 0
	.section	.AMDGPU.csdata,"",@progbits
; Kernel info:
; codeLenInByte = 8080
; TotalNumSgprs: 35
; NumVgprs: 33
; ScratchSize: 0
; MemoryBound: 0
; FloatMode: 240
; IeeeMode: 1
; LDSByteSize: 0 bytes/workgroup (compile time only)
; SGPRBlocks: 4
; VGPRBlocks: 8
; NumSGPRsForWavesPerEU: 35
; NumVGPRsForWavesPerEU: 33
; Occupancy: 7
; WaveLimiterHint : 1
; COMPUTE_PGM_RSRC2:SCRATCH_EN: 0
; COMPUTE_PGM_RSRC2:USER_SGPR: 6
; COMPUTE_PGM_RSRC2:TRAP_HANDLER: 0
; COMPUTE_PGM_RSRC2:TGID_X_EN: 1
; COMPUTE_PGM_RSRC2:TGID_Y_EN: 0
; COMPUTE_PGM_RSRC2:TGID_Z_EN: 0
; COMPUTE_PGM_RSRC2:TIDIG_COMP_CNT: 0
	.text
	.protected	_ZN19hipPrintfStressTest25kernel_printf_variablestrEjPi ; -- Begin function _ZN19hipPrintfStressTest25kernel_printf_variablestrEjPi
	.globl	_ZN19hipPrintfStressTest25kernel_printf_variablestrEjPi
	.p2align	8
	.type	_ZN19hipPrintfStressTest25kernel_printf_variablestrEjPi,@function
_ZN19hipPrintfStressTest25kernel_printf_variablestrEjPi: ; @_ZN19hipPrintfStressTest25kernel_printf_variablestrEjPi
; %bb.0:
	s_load_dword s2, s[4:5], 0x1c
	s_load_dword s28, s[4:5], 0x0
	s_add_u32 s0, s4, 16
	s_addc_u32 s1, s5, 0
	s_waitcnt lgkmcnt(0)
	s_and_b32 s2, s2, 0xffff
	s_mul_i32 s6, s6, s2
	s_cmp_gt_i32 s28, 0
	v_add_u32_e32 v29, s6, v0
	s_cbranch_scc1 .LBB3_2
; %bb.1:
	v_mov_b32_e32 v30, 0
	v_mov_b32_e32 v37, 0
	s_cbranch_execz .LBB3_3
	s_branch .LBB3_1229
.LBB3_2:
	v_mov_b32_e32 v37, 0
.LBB3_3:
	s_load_dwordx2 s[2:3], s[0:1], 0x50
	s_getpc_b64 s[0:1]
	s_add_u32 s0, s0, .str.5@rel32@lo+4
	s_addc_u32 s1, s1, .str.5@rel32@hi+12
	s_cmp_lg_u64 s[0:1], 0
	s_cselect_b64 s[6:7], -1, 0
	s_getpc_b64 s[0:1]
	s_add_u32 s0, s0, .str.4@rel32@lo+4
	s_addc_u32 s1, s1, .str.4@rel32@hi+12
	s_mov_b32 s8, 0
	v_mbcnt_lo_u32_b32 v0, -1, 0
	v_mov_b32_e32 v2, 0
	s_cmp_lg_u64 s[0:1], 0
	v_mbcnt_hi_u32_b32 v36, -1, v0
	s_cselect_b64 s[12:13], -1, 0
	v_mov_b32_e32 v30, v2
	s_mov_b32 s9, s8
	s_mov_b32 s10, s8
	;; [unrolled: 1-line block ×3, first 2 shown]
	s_movk_i32 s29, 0xff1f
	s_movk_i32 s30, 0xff1d
	v_mov_b32_e32 v5, 2
	v_mov_b32_e32 v6, 1
	;; [unrolled: 1-line block ×3, first 2 shown]
	s_mov_b32 s31, s8
	v_mov_b32_e32 v37, v2
	s_branch .LBB3_5
.LBB3_4:                                ;   in Loop: Header=BB3_5 Depth=1
	s_or_b64 exec, exec, s[16:17]
	v_add3_u32 v1, v37, v31, v32
	s_add_i32 s31, s31, 1
	s_cmp_eq_u32 s31, s28
	s_waitcnt vmcnt(0)
	v_add3_u32 v37, v1, v33, v3
	s_cbranch_scc1 .LBB3_1229
.LBB3_5:                                ; =>This Loop Header: Depth=1
                                        ;     Child Loop BB3_8 Depth 2
                                        ;     Child Loop BB3_16 Depth 2
                                        ;     Child Loop BB3_25 Depth 2
                                        ;     Child Loop BB3_30 Depth 2
                                        ;     Child Loop BB3_207 Depth 2
                                        ;     Child Loop BB3_215 Depth 2
                                        ;     Child Loop BB3_224 Depth 2
                                        ;     Child Loop BB3_229 Depth 2
                                        ;     Child Loop BB3_34 Depth 2
                                        ;       Child Loop BB3_37 Depth 3
                                        ;       Child Loop BB3_45 Depth 3
                                        ;       Child Loop BB3_53 Depth 3
                                        ;       Child Loop BB3_61 Depth 3
                                        ;       Child Loop BB3_69 Depth 3
                                        ;       Child Loop BB3_77 Depth 3
                                        ;       Child Loop BB3_85 Depth 3
                                        ;       Child Loop BB3_93 Depth 3
                                        ;       Child Loop BB3_101 Depth 3
                                        ;       Child Loop BB3_110 Depth 3
                                        ;       Child Loop BB3_115 Depth 3
                                        ;     Child Loop BB3_235 Depth 2
                                        ;     Child Loop BB3_243 Depth 2
                                        ;     Child Loop BB3_252 Depth 2
                                        ;     Child Loop BB3_257 Depth 2
                                        ;     Child Loop BB3_120 Depth 2
                                        ;       Child Loop BB3_123 Depth 3
                                        ;       Child Loop BB3_131 Depth 3
                                        ;       Child Loop BB3_139 Depth 3
                                        ;       Child Loop BB3_147 Depth 3
                                        ;       Child Loop BB3_155 Depth 3
                                        ;       Child Loop BB3_163 Depth 3
                                        ;       Child Loop BB3_171 Depth 3
                                        ;       Child Loop BB3_179 Depth 3
                                        ;       Child Loop BB3_187 Depth 3
                                        ;       Child Loop BB3_196 Depth 3
                                        ;       Child Loop BB3_201 Depth 3
                                        ;     Child Loop BB3_262 Depth 2
                                        ;     Child Loop BB3_270 Depth 2
                                        ;     Child Loop BB3_279 Depth 2
                                        ;     Child Loop BB3_284 Depth 2
                                        ;     Child Loop BB3_288 Depth 2
                                        ;     Child Loop BB3_296 Depth 2
                                        ;     Child Loop BB3_305 Depth 2
                                        ;     Child Loop BB3_310 Depth 2
                                        ;     Child Loop BB3_314 Depth 2
                                        ;     Child Loop BB3_322 Depth 2
                                        ;     Child Loop BB3_331 Depth 2
                                        ;     Child Loop BB3_336 Depth 2
                                        ;     Child Loop BB3_513 Depth 2
                                        ;     Child Loop BB3_521 Depth 2
                                        ;     Child Loop BB3_530 Depth 2
                                        ;     Child Loop BB3_535 Depth 2
                                        ;     Child Loop BB3_340 Depth 2
                                        ;       Child Loop BB3_343 Depth 3
                                        ;       Child Loop BB3_351 Depth 3
                                        ;       Child Loop BB3_359 Depth 3
                                        ;       Child Loop BB3_367 Depth 3
                                        ;       Child Loop BB3_375 Depth 3
                                        ;       Child Loop BB3_383 Depth 3
                                        ;       Child Loop BB3_391 Depth 3
                                        ;       Child Loop BB3_399 Depth 3
                                        ;       Child Loop BB3_407 Depth 3
                                        ;       Child Loop BB3_416 Depth 3
                                        ;       Child Loop BB3_421 Depth 3
                                        ;     Child Loop BB3_541 Depth 2
                                        ;     Child Loop BB3_549 Depth 2
                                        ;     Child Loop BB3_558 Depth 2
                                        ;     Child Loop BB3_563 Depth 2
                                        ;     Child Loop BB3_426 Depth 2
                                        ;       Child Loop BB3_429 Depth 3
                                        ;       Child Loop BB3_437 Depth 3
                                        ;       Child Loop BB3_445 Depth 3
                                        ;       Child Loop BB3_453 Depth 3
                                        ;       Child Loop BB3_461 Depth 3
                                        ;       Child Loop BB3_469 Depth 3
                                        ;       Child Loop BB3_477 Depth 3
                                        ;       Child Loop BB3_485 Depth 3
                                        ;       Child Loop BB3_493 Depth 3
                                        ;       Child Loop BB3_502 Depth 3
                                        ;       Child Loop BB3_507 Depth 3
                                        ;     Child Loop BB3_568 Depth 2
                                        ;     Child Loop BB3_576 Depth 2
                                        ;     Child Loop BB3_585 Depth 2
                                        ;     Child Loop BB3_590 Depth 2
                                        ;     Child Loop BB3_594 Depth 2
                                        ;     Child Loop BB3_602 Depth 2
                                        ;     Child Loop BB3_611 Depth 2
                                        ;     Child Loop BB3_616 Depth 2
	;; [unrolled: 44-line block ×4, first 2 shown]
	v_readfirstlane_b32 s0, v36
	v_mov_b32_e32 v3, 0
	v_mov_b32_e32 v4, 0
	v_cmp_eq_u32_e64 s[0:1], s0, v36
	s_and_saveexec_b64 s[14:15], s[0:1]
	s_cbranch_execz .LBB3_11
; %bb.6:                                ;   in Loop: Header=BB3_5 Depth=1
	s_waitcnt lgkmcnt(0)
	global_load_dwordx2 v[9:10], v2, s[2:3] offset:24 glc
	s_waitcnt vmcnt(0)
	buffer_wbinvl1_vol
	global_load_dwordx2 v[3:4], v2, s[2:3] offset:40
	global_load_dwordx2 v[7:8], v2, s[2:3]
	s_waitcnt vmcnt(1)
	v_and_b32_e32 v1, v3, v9
	v_and_b32_e32 v3, v4, v10
	v_mul_lo_u32 v3, v3, 24
	v_mul_hi_u32 v4, v1, 24
	v_mul_lo_u32 v1, v1, 24
	v_add_u32_e32 v4, v4, v3
	s_waitcnt vmcnt(0)
	v_add_co_u32_e32 v3, vcc, v7, v1
	v_addc_co_u32_e32 v4, vcc, v8, v4, vcc
	global_load_dwordx2 v[7:8], v[3:4], off glc
	s_waitcnt vmcnt(0)
	global_atomic_cmpswap_x2 v[3:4], v2, v[7:10], s[2:3] offset:24 glc
	s_waitcnt vmcnt(0)
	buffer_wbinvl1_vol
	v_cmp_ne_u64_e32 vcc, v[3:4], v[9:10]
	s_and_saveexec_b64 s[16:17], vcc
	s_cbranch_execz .LBB3_10
; %bb.7:                                ;   in Loop: Header=BB3_5 Depth=1
	s_mov_b64 s[18:19], 0
.LBB3_8:                                ;   Parent Loop BB3_5 Depth=1
                                        ; =>  This Inner Loop Header: Depth=2
	s_sleep 1
	global_load_dwordx2 v[7:8], v2, s[2:3] offset:40
	global_load_dwordx2 v[11:12], v2, s[2:3]
	v_mov_b32_e32 v10, v4
	v_mov_b32_e32 v9, v3
	s_waitcnt vmcnt(1)
	v_and_b32_e32 v1, v7, v9
	s_waitcnt vmcnt(0)
	v_mad_u64_u32 v[3:4], s[20:21], v1, 24, v[11:12]
	v_and_b32_e32 v7, v8, v10
	v_mov_b32_e32 v1, v4
	v_mad_u64_u32 v[7:8], s[20:21], v7, 24, v[1:2]
	v_mov_b32_e32 v4, v7
	global_load_dwordx2 v[7:8], v[3:4], off glc
	s_waitcnt vmcnt(0)
	global_atomic_cmpswap_x2 v[3:4], v2, v[7:10], s[2:3] offset:24 glc
	s_waitcnt vmcnt(0)
	buffer_wbinvl1_vol
	v_cmp_eq_u64_e32 vcc, v[3:4], v[9:10]
	s_or_b64 s[18:19], vcc, s[18:19]
	s_andn2_b64 exec, exec, s[18:19]
	s_cbranch_execnz .LBB3_8
; %bb.9:                                ;   in Loop: Header=BB3_5 Depth=1
	s_or_b64 exec, exec, s[18:19]
.LBB3_10:                               ;   in Loop: Header=BB3_5 Depth=1
	s_or_b64 exec, exec, s[16:17]
.LBB3_11:                               ;   in Loop: Header=BB3_5 Depth=1
	s_or_b64 exec, exec, s[14:15]
	s_waitcnt lgkmcnt(0)
	global_load_dwordx2 v[11:12], v2, s[2:3] offset:40
	global_load_dwordx4 v[7:10], v2, s[2:3]
	v_readfirstlane_b32 s15, v4
	v_readfirstlane_b32 s14, v3
	s_mov_b64 s[16:17], exec
	s_waitcnt vmcnt(1)
	v_readfirstlane_b32 s18, v11
	v_readfirstlane_b32 s19, v12
	s_and_b64 s[18:19], s[18:19], s[14:15]
	s_mul_i32 s20, s19, 24
	s_mul_hi_u32 s21, s18, 24
	s_mul_i32 s22, s18, 24
	s_add_i32 s20, s21, s20
	v_mov_b32_e32 v1, s20
	s_waitcnt vmcnt(0)
	v_add_co_u32_e32 v11, vcc, s22, v7
	v_addc_co_u32_e32 v12, vcc, v8, v1, vcc
	s_and_saveexec_b64 s[20:21], s[0:1]
	s_cbranch_execz .LBB3_13
; %bb.12:                               ;   in Loop: Header=BB3_5 Depth=1
	v_mov_b32_e32 v3, s16
	v_mov_b32_e32 v4, s17
	global_store_dwordx4 v[11:12], v[3:6], off offset:8
.LBB3_13:                               ;   in Loop: Header=BB3_5 Depth=1
	s_or_b64 exec, exec, s[20:21]
	s_lshl_b64 s[16:17], s[18:19], 12
	v_mov_b32_e32 v1, s17
	v_add_co_u32_e32 v13, vcc, s16, v9
	v_addc_co_u32_e32 v14, vcc, v10, v1, vcc
	v_mov_b32_e32 v18, s11
	v_lshlrev_b32_e32 v38, 6, v36
	v_mov_b32_e32 v1, v2
	v_mov_b32_e32 v3, v2
	v_readfirstlane_b32 s16, v13
	v_readfirstlane_b32 s17, v14
	v_mov_b32_e32 v17, s10
	v_mov_b32_e32 v16, s9
	;; [unrolled: 1-line block ×3, first 2 shown]
	s_nop 1
	global_store_dwordx4 v38, v[0:3], s[16:17]
	global_store_dwordx4 v38, v[15:18], s[16:17] offset:16
	global_store_dwordx4 v38, v[15:18], s[16:17] offset:32
	;; [unrolled: 1-line block ×3, first 2 shown]
	s_and_saveexec_b64 s[16:17], s[0:1]
	s_cbranch_execz .LBB3_21
; %bb.14:                               ;   in Loop: Header=BB3_5 Depth=1
	global_load_dwordx2 v[17:18], v2, s[2:3] offset:32 glc
	global_load_dwordx2 v[3:4], v2, s[2:3] offset:40
	v_mov_b32_e32 v15, s14
	v_mov_b32_e32 v16, s15
	s_waitcnt vmcnt(0)
	v_readfirstlane_b32 s18, v3
	v_readfirstlane_b32 s19, v4
	s_and_b64 s[18:19], s[18:19], s[14:15]
	s_mul_i32 s19, s19, 24
	s_mul_hi_u32 s20, s18, 24
	s_mul_i32 s18, s18, 24
	s_add_i32 s19, s20, s19
	v_mov_b32_e32 v1, s19
	v_add_co_u32_e32 v3, vcc, s18, v7
	v_addc_co_u32_e32 v4, vcc, v8, v1, vcc
	global_store_dwordx2 v[3:4], v[17:18], off
	s_waitcnt vmcnt(0)
	global_atomic_cmpswap_x2 v[9:10], v2, v[15:18], s[2:3] offset:32 glc
	s_waitcnt vmcnt(0)
	v_cmp_ne_u64_e32 vcc, v[9:10], v[17:18]
	s_and_saveexec_b64 s[18:19], vcc
	s_cbranch_execz .LBB3_17
; %bb.15:                               ;   in Loop: Header=BB3_5 Depth=1
	s_mov_b64 s[20:21], 0
.LBB3_16:                               ;   Parent Loop BB3_5 Depth=1
                                        ; =>  This Inner Loop Header: Depth=2
	s_sleep 1
	global_store_dwordx2 v[3:4], v[9:10], off
	v_mov_b32_e32 v7, s14
	v_mov_b32_e32 v8, s15
	s_waitcnt vmcnt(0)
	global_atomic_cmpswap_x2 v[7:8], v2, v[7:10], s[2:3] offset:32 glc
	s_waitcnt vmcnt(0)
	v_cmp_eq_u64_e32 vcc, v[7:8], v[9:10]
	v_mov_b32_e32 v10, v8
	s_or_b64 s[20:21], vcc, s[20:21]
	v_mov_b32_e32 v9, v7
	s_andn2_b64 exec, exec, s[20:21]
	s_cbranch_execnz .LBB3_16
.LBB3_17:                               ;   in Loop: Header=BB3_5 Depth=1
	s_or_b64 exec, exec, s[18:19]
	global_load_dwordx2 v[3:4], v2, s[2:3] offset:16
	s_mov_b64 s[20:21], exec
	v_mbcnt_lo_u32_b32 v1, s20, 0
	v_mbcnt_hi_u32_b32 v1, s21, v1
	v_cmp_eq_u32_e32 vcc, 0, v1
	s_and_saveexec_b64 s[18:19], vcc
	s_cbranch_execz .LBB3_19
; %bb.18:                               ;   in Loop: Header=BB3_5 Depth=1
	s_bcnt1_i32_b64 s20, s[20:21]
	v_mov_b32_e32 v1, s20
	s_waitcnt vmcnt(0)
	global_atomic_add_x2 v[3:4], v[1:2], off offset:8
.LBB3_19:                               ;   in Loop: Header=BB3_5 Depth=1
	s_or_b64 exec, exec, s[18:19]
	s_waitcnt vmcnt(0)
	global_load_dwordx2 v[7:8], v[3:4], off offset:16
	s_waitcnt vmcnt(0)
	v_cmp_eq_u64_e32 vcc, 0, v[7:8]
	s_cbranch_vccnz .LBB3_21
; %bb.20:                               ;   in Loop: Header=BB3_5 Depth=1
	global_load_dword v1, v[3:4], off offset:24
	s_waitcnt vmcnt(0)
	v_readfirstlane_b32 s18, v1
	s_and_b32 m0, s18, 0xffffff
	global_store_dwordx2 v[7:8], v[1:2], off
	s_sendmsg sendmsg(MSG_INTERRUPT)
.LBB3_21:                               ;   in Loop: Header=BB3_5 Depth=1
	s_or_b64 exec, exec, s[16:17]
	v_add_co_u32_e32 v3, vcc, v13, v38
	v_addc_co_u32_e32 v4, vcc, 0, v14, vcc
	s_branch .LBB3_25
.LBB3_22:                               ;   in Loop: Header=BB3_25 Depth=2
	s_or_b64 exec, exec, s[16:17]
	v_readfirstlane_b32 s16, v1
	s_cmp_eq_u32 s16, 0
	s_cbranch_scc1 .LBB3_24
; %bb.23:                               ;   in Loop: Header=BB3_25 Depth=2
	s_sleep 1
	s_cbranch_execnz .LBB3_25
	s_branch .LBB3_27
.LBB3_24:                               ;   in Loop: Header=BB3_5 Depth=1
	s_branch .LBB3_27
.LBB3_25:                               ;   Parent Loop BB3_5 Depth=1
                                        ; =>  This Inner Loop Header: Depth=2
	v_mov_b32_e32 v1, 1
	s_and_saveexec_b64 s[16:17], s[0:1]
	s_cbranch_execz .LBB3_22
; %bb.26:                               ;   in Loop: Header=BB3_25 Depth=2
	global_load_dword v1, v[11:12], off offset:20 glc
	s_waitcnt vmcnt(0)
	buffer_wbinvl1_vol
	v_and_b32_e32 v1, 1, v1
	s_branch .LBB3_22
.LBB3_27:                               ;   in Loop: Header=BB3_5 Depth=1
	global_load_dwordx2 v[11:12], v[3:4], off
	s_and_saveexec_b64 s[16:17], s[0:1]
	s_cbranch_execz .LBB3_31
; %bb.28:                               ;   in Loop: Header=BB3_5 Depth=1
	global_load_dwordx2 v[3:4], v2, s[2:3] offset:40
	global_load_dwordx2 v[15:16], v2, s[2:3] offset:24 glc
	global_load_dwordx2 v[7:8], v2, s[2:3]
	s_waitcnt vmcnt(2)
	v_readfirstlane_b32 s18, v3
	v_readfirstlane_b32 s19, v4
	s_add_u32 s20, s18, 1
	s_addc_u32 s21, s19, 0
	s_add_u32 s0, s20, s14
	s_addc_u32 s1, s21, s15
	s_cmp_eq_u64 s[0:1], 0
	s_cselect_b32 s1, s21, s1
	s_cselect_b32 s0, s20, s0
	s_and_b64 s[14:15], s[0:1], s[18:19]
	s_mul_i32 s15, s15, 24
	s_mul_hi_u32 s18, s14, 24
	s_mul_i32 s14, s14, 24
	s_add_i32 s15, s18, s15
	v_mov_b32_e32 v1, s15
	s_waitcnt vmcnt(0)
	v_add_co_u32_e32 v3, vcc, s14, v7
	v_addc_co_u32_e32 v4, vcc, v8, v1, vcc
	v_mov_b32_e32 v13, s0
	global_store_dwordx2 v[3:4], v[15:16], off
	v_mov_b32_e32 v14, s1
	s_waitcnt vmcnt(0)
	global_atomic_cmpswap_x2 v[9:10], v2, v[13:16], s[2:3] offset:24 glc
	s_waitcnt vmcnt(0)
	v_cmp_ne_u64_e32 vcc, v[9:10], v[15:16]
	s_and_b64 exec, exec, vcc
	s_cbranch_execz .LBB3_31
; %bb.29:                               ;   in Loop: Header=BB3_5 Depth=1
	s_mov_b64 s[14:15], 0
.LBB3_30:                               ;   Parent Loop BB3_5 Depth=1
                                        ; =>  This Inner Loop Header: Depth=2
	s_sleep 1
	global_store_dwordx2 v[3:4], v[9:10], off
	v_mov_b32_e32 v7, s0
	v_mov_b32_e32 v8, s1
	s_waitcnt vmcnt(0)
	global_atomic_cmpswap_x2 v[7:8], v2, v[7:10], s[2:3] offset:24 glc
	s_waitcnt vmcnt(0)
	v_cmp_eq_u64_e32 vcc, v[7:8], v[9:10]
	v_mov_b32_e32 v10, v8
	s_or_b64 s[14:15], vcc, s[14:15]
	v_mov_b32_e32 v9, v7
	s_andn2_b64 exec, exec, s[14:15]
	s_cbranch_execnz .LBB3_30
.LBB3_31:                               ;   in Loop: Header=BB3_5 Depth=1
	s_or_b64 exec, exec, s[16:17]
	s_and_b64 vcc, exec, s[6:7]
	s_cbranch_vccz .LBB3_203
; %bb.32:                               ;   in Loop: Header=BB3_5 Depth=1
	s_waitcnt vmcnt(0)
	v_and_b32_e32 v33, 2, v11
	v_and_b32_e32 v7, -3, v11
	v_mov_b32_e32 v8, v12
	s_mov_b64 s[16:17], 9
	s_getpc_b64 s[14:15]
	s_add_u32 s14, s14, .str.5@rel32@lo+4
	s_addc_u32 s15, s15, .str.5@rel32@hi+12
	s_branch .LBB3_34
.LBB3_33:                               ;   in Loop: Header=BB3_34 Depth=2
	s_or_b64 exec, exec, s[22:23]
	s_sub_u32 s16, s16, s18
	s_subb_u32 s17, s17, s19
	s_add_u32 s14, s14, s18
	s_addc_u32 s15, s15, s19
	s_cmp_lg_u64 s[16:17], 0
	s_cbranch_scc0 .LBB3_116
.LBB3_34:                               ;   Parent Loop BB3_5 Depth=1
                                        ; =>  This Loop Header: Depth=2
                                        ;       Child Loop BB3_37 Depth 3
                                        ;       Child Loop BB3_45 Depth 3
	;; [unrolled: 1-line block ×11, first 2 shown]
	v_cmp_lt_u64_e64 s[0:1], s[16:17], 56
	v_cmp_gt_u64_e64 s[20:21], s[16:17], 7
	s_and_b64 s[0:1], s[0:1], exec
	s_cselect_b32 s19, s17, 0
	s_cselect_b32 s18, s16, 56
	s_add_u32 s0, s14, 8
	s_addc_u32 s1, s15, 0
	s_and_b64 vcc, exec, s[20:21]
	s_cbranch_vccnz .LBB3_38
; %bb.35:                               ;   in Loop: Header=BB3_34 Depth=2
	s_cmp_eq_u64 s[16:17], 0
	s_cbranch_scc1 .LBB3_39
; %bb.36:                               ;   in Loop: Header=BB3_34 Depth=2
	v_mov_b32_e32 v9, 0
	s_lshl_b64 s[0:1], s[18:19], 3
	s_mov_b64 s[20:21], 0
	v_mov_b32_e32 v10, 0
	s_mov_b64 s[22:23], s[14:15]
.LBB3_37:                               ;   Parent Loop BB3_5 Depth=1
                                        ;     Parent Loop BB3_34 Depth=2
                                        ; =>    This Inner Loop Header: Depth=3
	global_load_ubyte v1, v2, s[22:23]
	s_waitcnt vmcnt(0)
	v_and_b32_e32 v1, 0xffff, v1
	v_lshlrev_b64 v[3:4], s20, v[1:2]
	s_add_u32 s20, s20, 8
	s_addc_u32 s21, s21, 0
	s_add_u32 s22, s22, 1
	s_addc_u32 s23, s23, 0
	v_or_b32_e32 v9, v3, v9
	s_cmp_lg_u32 s0, s20
	v_or_b32_e32 v10, v4, v10
	s_cbranch_scc1 .LBB3_37
	s_branch .LBB3_40
.LBB3_38:                               ;   in Loop: Header=BB3_34 Depth=2
	s_mov_b32 s24, 0
	s_branch .LBB3_41
.LBB3_39:                               ;   in Loop: Header=BB3_34 Depth=2
	v_mov_b32_e32 v9, 0
	v_mov_b32_e32 v10, 0
.LBB3_40:                               ;   in Loop: Header=BB3_34 Depth=2
	s_mov_b64 s[0:1], s[14:15]
	s_mov_b32 s24, 0
	s_cbranch_execnz .LBB3_42
.LBB3_41:                               ;   in Loop: Header=BB3_34 Depth=2
	global_load_dwordx2 v[9:10], v2, s[14:15]
	s_add_i32 s24, s18, -8
.LBB3_42:                               ;   in Loop: Header=BB3_34 Depth=2
	s_add_u32 s20, s0, 8
	s_addc_u32 s21, s1, 0
	s_cmp_gt_u32 s24, 7
	s_cbranch_scc1 .LBB3_46
; %bb.43:                               ;   in Loop: Header=BB3_34 Depth=2
	s_cmp_eq_u32 s24, 0
	s_cbranch_scc1 .LBB3_47
; %bb.44:                               ;   in Loop: Header=BB3_34 Depth=2
	v_mov_b32_e32 v13, 0
	s_mov_b64 s[20:21], 0
	v_mov_b32_e32 v14, 0
	s_mov_b64 s[22:23], 0
.LBB3_45:                               ;   Parent Loop BB3_5 Depth=1
                                        ;     Parent Loop BB3_34 Depth=2
                                        ; =>    This Inner Loop Header: Depth=3
	s_add_u32 s26, s0, s22
	s_addc_u32 s27, s1, s23
	global_load_ubyte v1, v2, s[26:27]
	s_add_u32 s22, s22, 1
	s_addc_u32 s23, s23, 0
	s_waitcnt vmcnt(0)
	v_and_b32_e32 v1, 0xffff, v1
	v_lshlrev_b64 v[3:4], s20, v[1:2]
	s_add_u32 s20, s20, 8
	s_addc_u32 s21, s21, 0
	v_or_b32_e32 v13, v3, v13
	s_cmp_lg_u32 s24, s22
	v_or_b32_e32 v14, v4, v14
	s_cbranch_scc1 .LBB3_45
	s_branch .LBB3_48
.LBB3_46:                               ;   in Loop: Header=BB3_34 Depth=2
                                        ; implicit-def: $vgpr13_vgpr14
	s_mov_b32 s25, 0
	s_branch .LBB3_49
.LBB3_47:                               ;   in Loop: Header=BB3_34 Depth=2
	v_mov_b32_e32 v13, 0
	v_mov_b32_e32 v14, 0
.LBB3_48:                               ;   in Loop: Header=BB3_34 Depth=2
	s_mov_b64 s[20:21], s[0:1]
	s_mov_b32 s25, 0
	s_cbranch_execnz .LBB3_50
.LBB3_49:                               ;   in Loop: Header=BB3_34 Depth=2
	global_load_dwordx2 v[13:14], v2, s[0:1]
	s_add_i32 s25, s24, -8
.LBB3_50:                               ;   in Loop: Header=BB3_34 Depth=2
	s_add_u32 s0, s20, 8
	s_addc_u32 s1, s21, 0
	s_cmp_gt_u32 s25, 7
	s_cbranch_scc1 .LBB3_54
; %bb.51:                               ;   in Loop: Header=BB3_34 Depth=2
	s_cmp_eq_u32 s25, 0
	s_cbranch_scc1 .LBB3_55
; %bb.52:                               ;   in Loop: Header=BB3_34 Depth=2
	v_mov_b32_e32 v15, 0
	s_mov_b64 s[0:1], 0
	v_mov_b32_e32 v16, 0
	s_mov_b64 s[22:23], 0
.LBB3_53:                               ;   Parent Loop BB3_5 Depth=1
                                        ;     Parent Loop BB3_34 Depth=2
                                        ; =>    This Inner Loop Header: Depth=3
	s_add_u32 s26, s20, s22
	s_addc_u32 s27, s21, s23
	global_load_ubyte v1, v2, s[26:27]
	s_add_u32 s22, s22, 1
	s_addc_u32 s23, s23, 0
	s_waitcnt vmcnt(0)
	v_and_b32_e32 v1, 0xffff, v1
	v_lshlrev_b64 v[3:4], s0, v[1:2]
	s_add_u32 s0, s0, 8
	s_addc_u32 s1, s1, 0
	v_or_b32_e32 v15, v3, v15
	s_cmp_lg_u32 s25, s22
	v_or_b32_e32 v16, v4, v16
	s_cbranch_scc1 .LBB3_53
	s_branch .LBB3_56
.LBB3_54:                               ;   in Loop: Header=BB3_34 Depth=2
	s_mov_b32 s24, 0
	s_branch .LBB3_57
.LBB3_55:                               ;   in Loop: Header=BB3_34 Depth=2
	v_mov_b32_e32 v15, 0
	v_mov_b32_e32 v16, 0
.LBB3_56:                               ;   in Loop: Header=BB3_34 Depth=2
	s_mov_b64 s[0:1], s[20:21]
	s_mov_b32 s24, 0
	s_cbranch_execnz .LBB3_58
.LBB3_57:                               ;   in Loop: Header=BB3_34 Depth=2
	global_load_dwordx2 v[15:16], v2, s[20:21]
	s_add_i32 s24, s25, -8
.LBB3_58:                               ;   in Loop: Header=BB3_34 Depth=2
	s_add_u32 s20, s0, 8
	s_addc_u32 s21, s1, 0
	s_cmp_gt_u32 s24, 7
	s_cbranch_scc1 .LBB3_62
; %bb.59:                               ;   in Loop: Header=BB3_34 Depth=2
	s_cmp_eq_u32 s24, 0
	s_cbranch_scc1 .LBB3_63
; %bb.60:                               ;   in Loop: Header=BB3_34 Depth=2
	v_mov_b32_e32 v17, 0
	s_mov_b64 s[20:21], 0
	v_mov_b32_e32 v18, 0
	s_mov_b64 s[22:23], 0
.LBB3_61:                               ;   Parent Loop BB3_5 Depth=1
                                        ;     Parent Loop BB3_34 Depth=2
                                        ; =>    This Inner Loop Header: Depth=3
	s_add_u32 s26, s0, s22
	s_addc_u32 s27, s1, s23
	global_load_ubyte v1, v2, s[26:27]
	s_add_u32 s22, s22, 1
	s_addc_u32 s23, s23, 0
	s_waitcnt vmcnt(0)
	v_and_b32_e32 v1, 0xffff, v1
	v_lshlrev_b64 v[3:4], s20, v[1:2]
	s_add_u32 s20, s20, 8
	s_addc_u32 s21, s21, 0
	v_or_b32_e32 v17, v3, v17
	s_cmp_lg_u32 s24, s22
	v_or_b32_e32 v18, v4, v18
	s_cbranch_scc1 .LBB3_61
	s_branch .LBB3_64
.LBB3_62:                               ;   in Loop: Header=BB3_34 Depth=2
                                        ; implicit-def: $vgpr17_vgpr18
	s_mov_b32 s25, 0
	s_branch .LBB3_65
.LBB3_63:                               ;   in Loop: Header=BB3_34 Depth=2
	v_mov_b32_e32 v17, 0
	v_mov_b32_e32 v18, 0
.LBB3_64:                               ;   in Loop: Header=BB3_34 Depth=2
	s_mov_b64 s[20:21], s[0:1]
	s_mov_b32 s25, 0
	s_cbranch_execnz .LBB3_66
.LBB3_65:                               ;   in Loop: Header=BB3_34 Depth=2
	global_load_dwordx2 v[17:18], v2, s[0:1]
	s_add_i32 s25, s24, -8
.LBB3_66:                               ;   in Loop: Header=BB3_34 Depth=2
	s_add_u32 s0, s20, 8
	s_addc_u32 s1, s21, 0
	s_cmp_gt_u32 s25, 7
	s_cbranch_scc1 .LBB3_70
; %bb.67:                               ;   in Loop: Header=BB3_34 Depth=2
	s_cmp_eq_u32 s25, 0
	s_cbranch_scc1 .LBB3_71
; %bb.68:                               ;   in Loop: Header=BB3_34 Depth=2
	v_mov_b32_e32 v19, 0
	s_mov_b64 s[0:1], 0
	v_mov_b32_e32 v20, 0
	s_mov_b64 s[22:23], 0
.LBB3_69:                               ;   Parent Loop BB3_5 Depth=1
                                        ;     Parent Loop BB3_34 Depth=2
                                        ; =>    This Inner Loop Header: Depth=3
	s_add_u32 s26, s20, s22
	s_addc_u32 s27, s21, s23
	global_load_ubyte v1, v2, s[26:27]
	s_add_u32 s22, s22, 1
	s_addc_u32 s23, s23, 0
	s_waitcnt vmcnt(0)
	v_and_b32_e32 v1, 0xffff, v1
	v_lshlrev_b64 v[3:4], s0, v[1:2]
	s_add_u32 s0, s0, 8
	s_addc_u32 s1, s1, 0
	v_or_b32_e32 v19, v3, v19
	s_cmp_lg_u32 s25, s22
	v_or_b32_e32 v20, v4, v20
	s_cbranch_scc1 .LBB3_69
	s_branch .LBB3_72
.LBB3_70:                               ;   in Loop: Header=BB3_34 Depth=2
	s_mov_b32 s24, 0
	s_branch .LBB3_73
.LBB3_71:                               ;   in Loop: Header=BB3_34 Depth=2
	v_mov_b32_e32 v19, 0
	v_mov_b32_e32 v20, 0
.LBB3_72:                               ;   in Loop: Header=BB3_34 Depth=2
	s_mov_b64 s[0:1], s[20:21]
	s_mov_b32 s24, 0
	s_cbranch_execnz .LBB3_74
.LBB3_73:                               ;   in Loop: Header=BB3_34 Depth=2
	global_load_dwordx2 v[19:20], v2, s[20:21]
	s_add_i32 s24, s25, -8
.LBB3_74:                               ;   in Loop: Header=BB3_34 Depth=2
	s_add_u32 s20, s0, 8
	s_addc_u32 s21, s1, 0
	s_cmp_gt_u32 s24, 7
	s_cbranch_scc1 .LBB3_78
; %bb.75:                               ;   in Loop: Header=BB3_34 Depth=2
	s_cmp_eq_u32 s24, 0
	s_cbranch_scc1 .LBB3_79
; %bb.76:                               ;   in Loop: Header=BB3_34 Depth=2
	v_mov_b32_e32 v21, 0
	s_mov_b64 s[20:21], 0
	v_mov_b32_e32 v22, 0
	s_mov_b64 s[22:23], 0
.LBB3_77:                               ;   Parent Loop BB3_5 Depth=1
                                        ;     Parent Loop BB3_34 Depth=2
                                        ; =>    This Inner Loop Header: Depth=3
	s_add_u32 s26, s0, s22
	s_addc_u32 s27, s1, s23
	global_load_ubyte v1, v2, s[26:27]
	s_add_u32 s22, s22, 1
	s_addc_u32 s23, s23, 0
	s_waitcnt vmcnt(0)
	v_and_b32_e32 v1, 0xffff, v1
	v_lshlrev_b64 v[3:4], s20, v[1:2]
	s_add_u32 s20, s20, 8
	s_addc_u32 s21, s21, 0
	v_or_b32_e32 v21, v3, v21
	s_cmp_lg_u32 s24, s22
	v_or_b32_e32 v22, v4, v22
	s_cbranch_scc1 .LBB3_77
	s_branch .LBB3_80
.LBB3_78:                               ;   in Loop: Header=BB3_34 Depth=2
                                        ; implicit-def: $vgpr21_vgpr22
	s_mov_b32 s25, 0
	s_branch .LBB3_81
.LBB3_79:                               ;   in Loop: Header=BB3_34 Depth=2
	v_mov_b32_e32 v21, 0
	v_mov_b32_e32 v22, 0
.LBB3_80:                               ;   in Loop: Header=BB3_34 Depth=2
	s_mov_b64 s[20:21], s[0:1]
	s_mov_b32 s25, 0
	s_cbranch_execnz .LBB3_82
.LBB3_81:                               ;   in Loop: Header=BB3_34 Depth=2
	global_load_dwordx2 v[21:22], v2, s[0:1]
	s_add_i32 s25, s24, -8
.LBB3_82:                               ;   in Loop: Header=BB3_34 Depth=2
	s_cmp_gt_u32 s25, 7
	s_cbranch_scc1 .LBB3_86
; %bb.83:                               ;   in Loop: Header=BB3_34 Depth=2
	s_cmp_eq_u32 s25, 0
	s_cbranch_scc1 .LBB3_87
; %bb.84:                               ;   in Loop: Header=BB3_34 Depth=2
	v_mov_b32_e32 v23, 0
	s_mov_b64 s[0:1], 0
	v_mov_b32_e32 v24, 0
	s_mov_b64 s[22:23], s[20:21]
.LBB3_85:                               ;   Parent Loop BB3_5 Depth=1
                                        ;     Parent Loop BB3_34 Depth=2
                                        ; =>    This Inner Loop Header: Depth=3
	global_load_ubyte v1, v2, s[22:23]
	s_add_i32 s25, s25, -1
	s_waitcnt vmcnt(0)
	v_and_b32_e32 v1, 0xffff, v1
	v_lshlrev_b64 v[3:4], s0, v[1:2]
	s_add_u32 s0, s0, 8
	s_addc_u32 s1, s1, 0
	s_add_u32 s22, s22, 1
	s_addc_u32 s23, s23, 0
	v_or_b32_e32 v23, v3, v23
	s_cmp_lg_u32 s25, 0
	v_or_b32_e32 v24, v4, v24
	s_cbranch_scc1 .LBB3_85
	s_branch .LBB3_88
.LBB3_86:                               ;   in Loop: Header=BB3_34 Depth=2
	s_branch .LBB3_89
.LBB3_87:                               ;   in Loop: Header=BB3_34 Depth=2
	v_mov_b32_e32 v23, 0
	v_mov_b32_e32 v24, 0
.LBB3_88:                               ;   in Loop: Header=BB3_34 Depth=2
	s_cbranch_execnz .LBB3_90
.LBB3_89:                               ;   in Loop: Header=BB3_34 Depth=2
	global_load_dwordx2 v[23:24], v2, s[20:21]
.LBB3_90:                               ;   in Loop: Header=BB3_34 Depth=2
	v_readfirstlane_b32 s0, v36
	v_mov_b32_e32 v3, 0
	v_mov_b32_e32 v4, 0
	v_cmp_eq_u32_e64 s[0:1], s0, v36
	s_and_saveexec_b64 s[20:21], s[0:1]
	s_cbranch_execz .LBB3_96
; %bb.91:                               ;   in Loop: Header=BB3_34 Depth=2
	global_load_dwordx2 v[27:28], v2, s[2:3] offset:24 glc
	s_waitcnt vmcnt(0)
	buffer_wbinvl1_vol
	global_load_dwordx2 v[3:4], v2, s[2:3] offset:40
	global_load_dwordx2 v[25:26], v2, s[2:3]
	s_waitcnt vmcnt(1)
	v_and_b32_e32 v1, v3, v27
	v_and_b32_e32 v3, v4, v28
	v_mul_lo_u32 v3, v3, 24
	v_mul_hi_u32 v4, v1, 24
	v_mul_lo_u32 v1, v1, 24
	v_add_u32_e32 v4, v4, v3
	s_waitcnt vmcnt(0)
	v_add_co_u32_e32 v3, vcc, v25, v1
	v_addc_co_u32_e32 v4, vcc, v26, v4, vcc
	global_load_dwordx2 v[25:26], v[3:4], off glc
	s_waitcnt vmcnt(0)
	global_atomic_cmpswap_x2 v[3:4], v2, v[25:28], s[2:3] offset:24 glc
	s_waitcnt vmcnt(0)
	buffer_wbinvl1_vol
	v_cmp_ne_u64_e32 vcc, v[3:4], v[27:28]
	s_and_saveexec_b64 s[22:23], vcc
	s_cbranch_execz .LBB3_95
; %bb.92:                               ;   in Loop: Header=BB3_34 Depth=2
	s_mov_b64 s[24:25], 0
.LBB3_93:                               ;   Parent Loop BB3_5 Depth=1
                                        ;     Parent Loop BB3_34 Depth=2
                                        ; =>    This Inner Loop Header: Depth=3
	s_sleep 1
	global_load_dwordx2 v[25:26], v2, s[2:3] offset:40
	global_load_dwordx2 v[31:32], v2, s[2:3]
	v_mov_b32_e32 v28, v4
	v_mov_b32_e32 v27, v3
	s_waitcnt vmcnt(1)
	v_and_b32_e32 v1, v25, v27
	s_waitcnt vmcnt(0)
	v_mad_u64_u32 v[3:4], s[26:27], v1, 24, v[31:32]
	v_and_b32_e32 v25, v26, v28
	v_mov_b32_e32 v1, v4
	v_mad_u64_u32 v[25:26], s[26:27], v25, 24, v[1:2]
	v_mov_b32_e32 v4, v25
	global_load_dwordx2 v[25:26], v[3:4], off glc
	s_waitcnt vmcnt(0)
	global_atomic_cmpswap_x2 v[3:4], v2, v[25:28], s[2:3] offset:24 glc
	s_waitcnt vmcnt(0)
	buffer_wbinvl1_vol
	v_cmp_eq_u64_e32 vcc, v[3:4], v[27:28]
	s_or_b64 s[24:25], vcc, s[24:25]
	s_andn2_b64 exec, exec, s[24:25]
	s_cbranch_execnz .LBB3_93
; %bb.94:                               ;   in Loop: Header=BB3_34 Depth=2
	s_or_b64 exec, exec, s[24:25]
.LBB3_95:                               ;   in Loop: Header=BB3_34 Depth=2
	s_or_b64 exec, exec, s[22:23]
.LBB3_96:                               ;   in Loop: Header=BB3_34 Depth=2
	s_or_b64 exec, exec, s[20:21]
	global_load_dwordx2 v[31:32], v2, s[2:3] offset:40
	global_load_dwordx4 v[25:28], v2, s[2:3]
	v_readfirstlane_b32 s21, v4
	v_readfirstlane_b32 s20, v3
	s_mov_b64 s[22:23], exec
	s_waitcnt vmcnt(1)
	v_readfirstlane_b32 s24, v31
	v_readfirstlane_b32 s25, v32
	s_and_b64 s[24:25], s[24:25], s[20:21]
	s_mul_i32 s26, s25, 24
	s_mul_hi_u32 s27, s24, 24
	s_mul_i32 s33, s24, 24
	s_add_i32 s26, s27, s26
	v_mov_b32_e32 v1, s26
	s_waitcnt vmcnt(0)
	v_add_co_u32_e32 v31, vcc, s33, v25
	v_addc_co_u32_e32 v32, vcc, v26, v1, vcc
	s_and_saveexec_b64 s[26:27], s[0:1]
	s_cbranch_execz .LBB3_98
; %bb.97:                               ;   in Loop: Header=BB3_34 Depth=2
	v_mov_b32_e32 v3, s22
	v_mov_b32_e32 v4, s23
	global_store_dwordx4 v[31:32], v[3:6], off offset:8
.LBB3_98:                               ;   in Loop: Header=BB3_34 Depth=2
	s_or_b64 exec, exec, s[26:27]
	s_lshl_b64 s[22:23], s[24:25], 12
	v_mov_b32_e32 v1, s23
	v_add_co_u32_e32 v27, vcc, s22, v27
	v_addc_co_u32_e32 v28, vcc, v28, v1, vcc
	v_cmp_lt_u64_e64 vcc, s[16:17], 57
	s_lshl_b32 s22, s18, 2
	v_cndmask_b32_e32 v1, 0, v33, vcc
	s_add_i32 s22, s22, 28
	v_and_b32_e32 v3, 0xffffff1f, v7
	s_and_b32 s22, s22, 0x1e0
	v_or_b32_e32 v1, v3, v1
	v_or_b32_e32 v7, s22, v1
	v_readfirstlane_b32 s22, v27
	v_readfirstlane_b32 s23, v28
	s_nop 4
	global_store_dwordx4 v38, v[7:10], s[22:23]
	global_store_dwordx4 v38, v[13:16], s[22:23] offset:16
	global_store_dwordx4 v38, v[17:20], s[22:23] offset:32
	;; [unrolled: 1-line block ×3, first 2 shown]
	s_and_saveexec_b64 s[22:23], s[0:1]
	s_cbranch_execz .LBB3_106
; %bb.99:                               ;   in Loop: Header=BB3_34 Depth=2
	global_load_dwordx2 v[15:16], v2, s[2:3] offset:32 glc
	global_load_dwordx2 v[3:4], v2, s[2:3] offset:40
	v_mov_b32_e32 v13, s20
	v_mov_b32_e32 v14, s21
	s_waitcnt vmcnt(0)
	v_readfirstlane_b32 s24, v3
	v_readfirstlane_b32 s25, v4
	s_and_b64 s[24:25], s[24:25], s[20:21]
	s_mul_i32 s25, s25, 24
	s_mul_hi_u32 s26, s24, 24
	s_mul_i32 s24, s24, 24
	s_add_i32 s25, s26, s25
	v_mov_b32_e32 v1, s25
	v_add_co_u32_e32 v3, vcc, s24, v25
	v_addc_co_u32_e32 v4, vcc, v26, v1, vcc
	global_store_dwordx2 v[3:4], v[15:16], off
	s_waitcnt vmcnt(0)
	global_atomic_cmpswap_x2 v[9:10], v2, v[13:16], s[2:3] offset:32 glc
	s_waitcnt vmcnt(0)
	v_cmp_ne_u64_e32 vcc, v[9:10], v[15:16]
	s_and_saveexec_b64 s[24:25], vcc
	s_cbranch_execz .LBB3_102
; %bb.100:                              ;   in Loop: Header=BB3_34 Depth=2
	s_mov_b64 s[26:27], 0
.LBB3_101:                              ;   Parent Loop BB3_5 Depth=1
                                        ;     Parent Loop BB3_34 Depth=2
                                        ; =>    This Inner Loop Header: Depth=3
	s_sleep 1
	global_store_dwordx2 v[3:4], v[9:10], off
	v_mov_b32_e32 v7, s20
	v_mov_b32_e32 v8, s21
	s_waitcnt vmcnt(0)
	global_atomic_cmpswap_x2 v[7:8], v2, v[7:10], s[2:3] offset:32 glc
	s_waitcnt vmcnt(0)
	v_cmp_eq_u64_e32 vcc, v[7:8], v[9:10]
	v_mov_b32_e32 v10, v8
	s_or_b64 s[26:27], vcc, s[26:27]
	v_mov_b32_e32 v9, v7
	s_andn2_b64 exec, exec, s[26:27]
	s_cbranch_execnz .LBB3_101
.LBB3_102:                              ;   in Loop: Header=BB3_34 Depth=2
	s_or_b64 exec, exec, s[24:25]
	global_load_dwordx2 v[3:4], v2, s[2:3] offset:16
	s_mov_b64 s[26:27], exec
	v_mbcnt_lo_u32_b32 v1, s26, 0
	v_mbcnt_hi_u32_b32 v1, s27, v1
	v_cmp_eq_u32_e32 vcc, 0, v1
	s_and_saveexec_b64 s[24:25], vcc
	s_cbranch_execz .LBB3_104
; %bb.103:                              ;   in Loop: Header=BB3_34 Depth=2
	s_bcnt1_i32_b64 s26, s[26:27]
	v_mov_b32_e32 v1, s26
	s_waitcnt vmcnt(0)
	global_atomic_add_x2 v[3:4], v[1:2], off offset:8
.LBB3_104:                              ;   in Loop: Header=BB3_34 Depth=2
	s_or_b64 exec, exec, s[24:25]
	s_waitcnt vmcnt(0)
	global_load_dwordx2 v[7:8], v[3:4], off offset:16
	s_waitcnt vmcnt(0)
	v_cmp_eq_u64_e32 vcc, 0, v[7:8]
	s_cbranch_vccnz .LBB3_106
; %bb.105:                              ;   in Loop: Header=BB3_34 Depth=2
	global_load_dword v1, v[3:4], off offset:24
	s_waitcnt vmcnt(0)
	v_readfirstlane_b32 s24, v1
	s_and_b32 m0, s24, 0xffffff
	global_store_dwordx2 v[7:8], v[1:2], off
	s_sendmsg sendmsg(MSG_INTERRUPT)
.LBB3_106:                              ;   in Loop: Header=BB3_34 Depth=2
	s_or_b64 exec, exec, s[22:23]
	v_add_co_u32_e32 v3, vcc, v27, v38
	v_addc_co_u32_e32 v4, vcc, 0, v28, vcc
	s_branch .LBB3_110
.LBB3_107:                              ;   in Loop: Header=BB3_110 Depth=3
	s_or_b64 exec, exec, s[22:23]
	v_readfirstlane_b32 s22, v1
	s_cmp_eq_u32 s22, 0
	s_cbranch_scc1 .LBB3_109
; %bb.108:                              ;   in Loop: Header=BB3_110 Depth=3
	s_sleep 1
	s_cbranch_execnz .LBB3_110
	s_branch .LBB3_112
.LBB3_109:                              ;   in Loop: Header=BB3_34 Depth=2
	s_branch .LBB3_112
.LBB3_110:                              ;   Parent Loop BB3_5 Depth=1
                                        ;     Parent Loop BB3_34 Depth=2
                                        ; =>    This Inner Loop Header: Depth=3
	v_mov_b32_e32 v1, 1
	s_and_saveexec_b64 s[22:23], s[0:1]
	s_cbranch_execz .LBB3_107
; %bb.111:                              ;   in Loop: Header=BB3_110 Depth=3
	global_load_dword v1, v[31:32], off offset:20 glc
	s_waitcnt vmcnt(0)
	buffer_wbinvl1_vol
	v_and_b32_e32 v1, 1, v1
	s_branch .LBB3_107
.LBB3_112:                              ;   in Loop: Header=BB3_34 Depth=2
	global_load_dwordx2 v[7:8], v[3:4], off
	s_and_saveexec_b64 s[22:23], s[0:1]
	s_cbranch_execz .LBB3_33
; %bb.113:                              ;   in Loop: Header=BB3_34 Depth=2
	global_load_dwordx2 v[3:4], v2, s[2:3] offset:40
	global_load_dwordx2 v[17:18], v2, s[2:3] offset:24 glc
	global_load_dwordx2 v[9:10], v2, s[2:3]
	s_waitcnt vmcnt(2)
	v_readfirstlane_b32 s24, v3
	v_readfirstlane_b32 s25, v4
	s_add_u32 s26, s24, 1
	s_addc_u32 s27, s25, 0
	s_add_u32 s0, s26, s20
	s_addc_u32 s1, s27, s21
	s_cmp_eq_u64 s[0:1], 0
	s_cselect_b32 s1, s27, s1
	s_cselect_b32 s0, s26, s0
	s_and_b64 s[20:21], s[0:1], s[24:25]
	s_mul_i32 s21, s21, 24
	s_mul_hi_u32 s24, s20, 24
	s_mul_i32 s20, s20, 24
	s_add_i32 s21, s24, s21
	v_mov_b32_e32 v1, s21
	s_waitcnt vmcnt(0)
	v_add_co_u32_e32 v3, vcc, s20, v9
	v_addc_co_u32_e32 v4, vcc, v10, v1, vcc
	v_mov_b32_e32 v15, s0
	global_store_dwordx2 v[3:4], v[17:18], off
	v_mov_b32_e32 v16, s1
	s_waitcnt vmcnt(0)
	global_atomic_cmpswap_x2 v[15:16], v2, v[15:18], s[2:3] offset:24 glc
	s_waitcnt vmcnt(0)
	v_cmp_ne_u64_e32 vcc, v[15:16], v[17:18]
	s_and_b64 exec, exec, vcc
	s_cbranch_execz .LBB3_33
; %bb.114:                              ;   in Loop: Header=BB3_34 Depth=2
	s_mov_b64 s[20:21], 0
.LBB3_115:                              ;   Parent Loop BB3_5 Depth=1
                                        ;     Parent Loop BB3_34 Depth=2
                                        ; =>    This Inner Loop Header: Depth=3
	s_sleep 1
	global_store_dwordx2 v[3:4], v[15:16], off
	v_mov_b32_e32 v13, s0
	v_mov_b32_e32 v14, s1
	s_waitcnt vmcnt(0)
	global_atomic_cmpswap_x2 v[9:10], v2, v[13:16], s[2:3] offset:24 glc
	s_waitcnt vmcnt(0)
	v_cmp_eq_u64_e32 vcc, v[9:10], v[15:16]
	v_mov_b32_e32 v16, v10
	s_or_b64 s[20:21], vcc, s[20:21]
	v_mov_b32_e32 v15, v9
	s_andn2_b64 exec, exec, s[20:21]
	s_cbranch_execnz .LBB3_115
	s_branch .LBB3_33
.LBB3_116:                              ;   in Loop: Header=BB3_5 Depth=1
.LBB3_117:                              ;   in Loop: Header=BB3_5 Depth=1
	s_and_b64 vcc, exec, s[12:13]
	s_cbranch_vccz .LBB3_231
.LBB3_118:                              ;   in Loop: Header=BB3_5 Depth=1
	s_waitcnt vmcnt(0)
	v_and_b32_e32 v33, 2, v7
	v_and_b32_e32 v9, -3, v7
	v_mov_b32_e32 v10, v8
	s_mov_b64 s[16:17], 56
	s_getpc_b64 s[14:15]
	s_add_u32 s14, s14, .str.4@rel32@lo+4
	s_addc_u32 s15, s15, .str.4@rel32@hi+12
	s_branch .LBB3_120
.LBB3_119:                              ;   in Loop: Header=BB3_120 Depth=2
	s_or_b64 exec, exec, s[22:23]
	s_sub_u32 s16, s16, s18
	s_subb_u32 s17, s17, s19
	s_add_u32 s14, s14, s18
	s_addc_u32 s15, s15, s19
	s_cmp_lg_u64 s[16:17], 0
	s_cbranch_scc0 .LBB3_202
.LBB3_120:                              ;   Parent Loop BB3_5 Depth=1
                                        ; =>  This Loop Header: Depth=2
                                        ;       Child Loop BB3_123 Depth 3
                                        ;       Child Loop BB3_131 Depth 3
	;; [unrolled: 1-line block ×11, first 2 shown]
	v_cmp_lt_u64_e64 s[0:1], s[16:17], 56
	v_cmp_gt_u64_e64 s[20:21], s[16:17], 7
	s_and_b64 s[0:1], s[0:1], exec
	s_cselect_b32 s19, s17, 0
	s_cselect_b32 s18, s16, 56
	s_add_u32 s0, s14, 8
	s_addc_u32 s1, s15, 0
	s_and_b64 vcc, exec, s[20:21]
	s_cbranch_vccnz .LBB3_124
; %bb.121:                              ;   in Loop: Header=BB3_120 Depth=2
	s_cmp_eq_u64 s[16:17], 0
	s_cbranch_scc1 .LBB3_125
; %bb.122:                              ;   in Loop: Header=BB3_120 Depth=2
	v_mov_b32_e32 v11, 0
	s_lshl_b64 s[0:1], s[18:19], 3
	s_mov_b64 s[20:21], 0
	v_mov_b32_e32 v12, 0
	s_mov_b64 s[22:23], s[14:15]
.LBB3_123:                              ;   Parent Loop BB3_5 Depth=1
                                        ;     Parent Loop BB3_120 Depth=2
                                        ; =>    This Inner Loop Header: Depth=3
	global_load_ubyte v1, v2, s[22:23]
	s_waitcnt vmcnt(0)
	v_and_b32_e32 v1, 0xffff, v1
	v_lshlrev_b64 v[3:4], s20, v[1:2]
	s_add_u32 s20, s20, 8
	s_addc_u32 s21, s21, 0
	s_add_u32 s22, s22, 1
	s_addc_u32 s23, s23, 0
	v_or_b32_e32 v11, v3, v11
	s_cmp_lg_u32 s0, s20
	v_or_b32_e32 v12, v4, v12
	s_cbranch_scc1 .LBB3_123
	s_branch .LBB3_126
.LBB3_124:                              ;   in Loop: Header=BB3_120 Depth=2
	s_mov_b32 s24, 0
	s_branch .LBB3_127
.LBB3_125:                              ;   in Loop: Header=BB3_120 Depth=2
	v_mov_b32_e32 v11, 0
	v_mov_b32_e32 v12, 0
.LBB3_126:                              ;   in Loop: Header=BB3_120 Depth=2
	s_mov_b64 s[0:1], s[14:15]
	s_mov_b32 s24, 0
	s_cbranch_execnz .LBB3_128
.LBB3_127:                              ;   in Loop: Header=BB3_120 Depth=2
	global_load_dwordx2 v[11:12], v2, s[14:15]
	s_add_i32 s24, s18, -8
.LBB3_128:                              ;   in Loop: Header=BB3_120 Depth=2
	s_add_u32 s20, s0, 8
	s_addc_u32 s21, s1, 0
	s_cmp_gt_u32 s24, 7
	s_cbranch_scc1 .LBB3_132
; %bb.129:                              ;   in Loop: Header=BB3_120 Depth=2
	s_cmp_eq_u32 s24, 0
	s_cbranch_scc1 .LBB3_133
; %bb.130:                              ;   in Loop: Header=BB3_120 Depth=2
	v_mov_b32_e32 v13, 0
	s_mov_b64 s[20:21], 0
	v_mov_b32_e32 v14, 0
	s_mov_b64 s[22:23], 0
.LBB3_131:                              ;   Parent Loop BB3_5 Depth=1
                                        ;     Parent Loop BB3_120 Depth=2
                                        ; =>    This Inner Loop Header: Depth=3
	s_add_u32 s26, s0, s22
	s_addc_u32 s27, s1, s23
	global_load_ubyte v1, v2, s[26:27]
	s_add_u32 s22, s22, 1
	s_addc_u32 s23, s23, 0
	s_waitcnt vmcnt(0)
	v_and_b32_e32 v1, 0xffff, v1
	v_lshlrev_b64 v[3:4], s20, v[1:2]
	s_add_u32 s20, s20, 8
	s_addc_u32 s21, s21, 0
	v_or_b32_e32 v13, v3, v13
	s_cmp_lg_u32 s24, s22
	v_or_b32_e32 v14, v4, v14
	s_cbranch_scc1 .LBB3_131
	s_branch .LBB3_134
.LBB3_132:                              ;   in Loop: Header=BB3_120 Depth=2
                                        ; implicit-def: $vgpr13_vgpr14
	s_mov_b32 s25, 0
	s_branch .LBB3_135
.LBB3_133:                              ;   in Loop: Header=BB3_120 Depth=2
	v_mov_b32_e32 v13, 0
	v_mov_b32_e32 v14, 0
.LBB3_134:                              ;   in Loop: Header=BB3_120 Depth=2
	s_mov_b64 s[20:21], s[0:1]
	s_mov_b32 s25, 0
	s_cbranch_execnz .LBB3_136
.LBB3_135:                              ;   in Loop: Header=BB3_120 Depth=2
	global_load_dwordx2 v[13:14], v2, s[0:1]
	s_add_i32 s25, s24, -8
.LBB3_136:                              ;   in Loop: Header=BB3_120 Depth=2
	s_add_u32 s0, s20, 8
	s_addc_u32 s1, s21, 0
	s_cmp_gt_u32 s25, 7
	s_cbranch_scc1 .LBB3_140
; %bb.137:                              ;   in Loop: Header=BB3_120 Depth=2
	s_cmp_eq_u32 s25, 0
	s_cbranch_scc1 .LBB3_141
; %bb.138:                              ;   in Loop: Header=BB3_120 Depth=2
	v_mov_b32_e32 v15, 0
	s_mov_b64 s[0:1], 0
	v_mov_b32_e32 v16, 0
	s_mov_b64 s[22:23], 0
.LBB3_139:                              ;   Parent Loop BB3_5 Depth=1
                                        ;     Parent Loop BB3_120 Depth=2
                                        ; =>    This Inner Loop Header: Depth=3
	s_add_u32 s26, s20, s22
	s_addc_u32 s27, s21, s23
	global_load_ubyte v1, v2, s[26:27]
	s_add_u32 s22, s22, 1
	s_addc_u32 s23, s23, 0
	s_waitcnt vmcnt(0)
	v_and_b32_e32 v1, 0xffff, v1
	v_lshlrev_b64 v[3:4], s0, v[1:2]
	s_add_u32 s0, s0, 8
	s_addc_u32 s1, s1, 0
	v_or_b32_e32 v15, v3, v15
	s_cmp_lg_u32 s25, s22
	v_or_b32_e32 v16, v4, v16
	s_cbranch_scc1 .LBB3_139
	s_branch .LBB3_142
.LBB3_140:                              ;   in Loop: Header=BB3_120 Depth=2
	s_mov_b32 s24, 0
	s_branch .LBB3_143
.LBB3_141:                              ;   in Loop: Header=BB3_120 Depth=2
	v_mov_b32_e32 v15, 0
	v_mov_b32_e32 v16, 0
.LBB3_142:                              ;   in Loop: Header=BB3_120 Depth=2
	s_mov_b64 s[0:1], s[20:21]
	s_mov_b32 s24, 0
	s_cbranch_execnz .LBB3_144
.LBB3_143:                              ;   in Loop: Header=BB3_120 Depth=2
	global_load_dwordx2 v[15:16], v2, s[20:21]
	s_add_i32 s24, s25, -8
.LBB3_144:                              ;   in Loop: Header=BB3_120 Depth=2
	s_add_u32 s20, s0, 8
	s_addc_u32 s21, s1, 0
	s_cmp_gt_u32 s24, 7
	s_cbranch_scc1 .LBB3_148
; %bb.145:                              ;   in Loop: Header=BB3_120 Depth=2
	s_cmp_eq_u32 s24, 0
	s_cbranch_scc1 .LBB3_149
; %bb.146:                              ;   in Loop: Header=BB3_120 Depth=2
	v_mov_b32_e32 v17, 0
	s_mov_b64 s[20:21], 0
	v_mov_b32_e32 v18, 0
	s_mov_b64 s[22:23], 0
.LBB3_147:                              ;   Parent Loop BB3_5 Depth=1
                                        ;     Parent Loop BB3_120 Depth=2
                                        ; =>    This Inner Loop Header: Depth=3
	s_add_u32 s26, s0, s22
	s_addc_u32 s27, s1, s23
	global_load_ubyte v1, v2, s[26:27]
	s_add_u32 s22, s22, 1
	s_addc_u32 s23, s23, 0
	s_waitcnt vmcnt(0)
	v_and_b32_e32 v1, 0xffff, v1
	v_lshlrev_b64 v[3:4], s20, v[1:2]
	s_add_u32 s20, s20, 8
	s_addc_u32 s21, s21, 0
	v_or_b32_e32 v17, v3, v17
	s_cmp_lg_u32 s24, s22
	v_or_b32_e32 v18, v4, v18
	s_cbranch_scc1 .LBB3_147
	s_branch .LBB3_150
.LBB3_148:                              ;   in Loop: Header=BB3_120 Depth=2
                                        ; implicit-def: $vgpr17_vgpr18
	s_mov_b32 s25, 0
	s_branch .LBB3_151
.LBB3_149:                              ;   in Loop: Header=BB3_120 Depth=2
	v_mov_b32_e32 v17, 0
	v_mov_b32_e32 v18, 0
.LBB3_150:                              ;   in Loop: Header=BB3_120 Depth=2
	s_mov_b64 s[20:21], s[0:1]
	s_mov_b32 s25, 0
	s_cbranch_execnz .LBB3_152
.LBB3_151:                              ;   in Loop: Header=BB3_120 Depth=2
	global_load_dwordx2 v[17:18], v2, s[0:1]
	s_add_i32 s25, s24, -8
.LBB3_152:                              ;   in Loop: Header=BB3_120 Depth=2
	s_add_u32 s0, s20, 8
	s_addc_u32 s1, s21, 0
	s_cmp_gt_u32 s25, 7
	s_cbranch_scc1 .LBB3_156
; %bb.153:                              ;   in Loop: Header=BB3_120 Depth=2
	s_cmp_eq_u32 s25, 0
	s_cbranch_scc1 .LBB3_157
; %bb.154:                              ;   in Loop: Header=BB3_120 Depth=2
	v_mov_b32_e32 v19, 0
	s_mov_b64 s[0:1], 0
	v_mov_b32_e32 v20, 0
	s_mov_b64 s[22:23], 0
.LBB3_155:                              ;   Parent Loop BB3_5 Depth=1
                                        ;     Parent Loop BB3_120 Depth=2
                                        ; =>    This Inner Loop Header: Depth=3
	s_add_u32 s26, s20, s22
	s_addc_u32 s27, s21, s23
	global_load_ubyte v1, v2, s[26:27]
	s_add_u32 s22, s22, 1
	s_addc_u32 s23, s23, 0
	s_waitcnt vmcnt(0)
	v_and_b32_e32 v1, 0xffff, v1
	v_lshlrev_b64 v[3:4], s0, v[1:2]
	s_add_u32 s0, s0, 8
	s_addc_u32 s1, s1, 0
	v_or_b32_e32 v19, v3, v19
	s_cmp_lg_u32 s25, s22
	v_or_b32_e32 v20, v4, v20
	s_cbranch_scc1 .LBB3_155
	s_branch .LBB3_158
.LBB3_156:                              ;   in Loop: Header=BB3_120 Depth=2
	s_mov_b32 s24, 0
	s_branch .LBB3_159
.LBB3_157:                              ;   in Loop: Header=BB3_120 Depth=2
	v_mov_b32_e32 v19, 0
	v_mov_b32_e32 v20, 0
.LBB3_158:                              ;   in Loop: Header=BB3_120 Depth=2
	s_mov_b64 s[0:1], s[20:21]
	s_mov_b32 s24, 0
	s_cbranch_execnz .LBB3_160
.LBB3_159:                              ;   in Loop: Header=BB3_120 Depth=2
	global_load_dwordx2 v[19:20], v2, s[20:21]
	s_add_i32 s24, s25, -8
.LBB3_160:                              ;   in Loop: Header=BB3_120 Depth=2
	s_add_u32 s20, s0, 8
	s_addc_u32 s21, s1, 0
	s_cmp_gt_u32 s24, 7
	s_cbranch_scc1 .LBB3_164
; %bb.161:                              ;   in Loop: Header=BB3_120 Depth=2
	s_cmp_eq_u32 s24, 0
	s_cbranch_scc1 .LBB3_165
; %bb.162:                              ;   in Loop: Header=BB3_120 Depth=2
	v_mov_b32_e32 v21, 0
	s_mov_b64 s[20:21], 0
	v_mov_b32_e32 v22, 0
	s_mov_b64 s[22:23], 0
.LBB3_163:                              ;   Parent Loop BB3_5 Depth=1
                                        ;     Parent Loop BB3_120 Depth=2
                                        ; =>    This Inner Loop Header: Depth=3
	s_add_u32 s26, s0, s22
	s_addc_u32 s27, s1, s23
	global_load_ubyte v1, v2, s[26:27]
	s_add_u32 s22, s22, 1
	s_addc_u32 s23, s23, 0
	s_waitcnt vmcnt(0)
	v_and_b32_e32 v1, 0xffff, v1
	v_lshlrev_b64 v[3:4], s20, v[1:2]
	s_add_u32 s20, s20, 8
	s_addc_u32 s21, s21, 0
	v_or_b32_e32 v21, v3, v21
	s_cmp_lg_u32 s24, s22
	v_or_b32_e32 v22, v4, v22
	s_cbranch_scc1 .LBB3_163
	s_branch .LBB3_166
.LBB3_164:                              ;   in Loop: Header=BB3_120 Depth=2
                                        ; implicit-def: $vgpr21_vgpr22
	s_mov_b32 s25, 0
	s_branch .LBB3_167
.LBB3_165:                              ;   in Loop: Header=BB3_120 Depth=2
	v_mov_b32_e32 v21, 0
	v_mov_b32_e32 v22, 0
.LBB3_166:                              ;   in Loop: Header=BB3_120 Depth=2
	s_mov_b64 s[20:21], s[0:1]
	s_mov_b32 s25, 0
	s_cbranch_execnz .LBB3_168
.LBB3_167:                              ;   in Loop: Header=BB3_120 Depth=2
	global_load_dwordx2 v[21:22], v2, s[0:1]
	s_add_i32 s25, s24, -8
.LBB3_168:                              ;   in Loop: Header=BB3_120 Depth=2
	s_cmp_gt_u32 s25, 7
	s_cbranch_scc1 .LBB3_172
; %bb.169:                              ;   in Loop: Header=BB3_120 Depth=2
	s_cmp_eq_u32 s25, 0
	s_cbranch_scc1 .LBB3_173
; %bb.170:                              ;   in Loop: Header=BB3_120 Depth=2
	v_mov_b32_e32 v23, 0
	s_mov_b64 s[0:1], 0
	v_mov_b32_e32 v24, 0
	s_mov_b64 s[22:23], s[20:21]
.LBB3_171:                              ;   Parent Loop BB3_5 Depth=1
                                        ;     Parent Loop BB3_120 Depth=2
                                        ; =>    This Inner Loop Header: Depth=3
	global_load_ubyte v1, v2, s[22:23]
	s_add_i32 s25, s25, -1
	s_waitcnt vmcnt(0)
	v_and_b32_e32 v1, 0xffff, v1
	v_lshlrev_b64 v[3:4], s0, v[1:2]
	s_add_u32 s0, s0, 8
	s_addc_u32 s1, s1, 0
	s_add_u32 s22, s22, 1
	s_addc_u32 s23, s23, 0
	v_or_b32_e32 v23, v3, v23
	s_cmp_lg_u32 s25, 0
	v_or_b32_e32 v24, v4, v24
	s_cbranch_scc1 .LBB3_171
	s_branch .LBB3_174
.LBB3_172:                              ;   in Loop: Header=BB3_120 Depth=2
	s_branch .LBB3_175
.LBB3_173:                              ;   in Loop: Header=BB3_120 Depth=2
	v_mov_b32_e32 v23, 0
	v_mov_b32_e32 v24, 0
.LBB3_174:                              ;   in Loop: Header=BB3_120 Depth=2
	s_cbranch_execnz .LBB3_176
.LBB3_175:                              ;   in Loop: Header=BB3_120 Depth=2
	global_load_dwordx2 v[23:24], v2, s[20:21]
.LBB3_176:                              ;   in Loop: Header=BB3_120 Depth=2
	v_readfirstlane_b32 s0, v36
	v_mov_b32_e32 v3, 0
	v_mov_b32_e32 v4, 0
	v_cmp_eq_u32_e64 s[0:1], s0, v36
	s_and_saveexec_b64 s[20:21], s[0:1]
	s_cbranch_execz .LBB3_182
; %bb.177:                              ;   in Loop: Header=BB3_120 Depth=2
	global_load_dwordx2 v[27:28], v2, s[2:3] offset:24 glc
	s_waitcnt vmcnt(0)
	buffer_wbinvl1_vol
	global_load_dwordx2 v[3:4], v2, s[2:3] offset:40
	global_load_dwordx2 v[25:26], v2, s[2:3]
	s_waitcnt vmcnt(1)
	v_and_b32_e32 v1, v3, v27
	v_and_b32_e32 v3, v4, v28
	v_mul_lo_u32 v3, v3, 24
	v_mul_hi_u32 v4, v1, 24
	v_mul_lo_u32 v1, v1, 24
	v_add_u32_e32 v4, v4, v3
	s_waitcnt vmcnt(0)
	v_add_co_u32_e32 v3, vcc, v25, v1
	v_addc_co_u32_e32 v4, vcc, v26, v4, vcc
	global_load_dwordx2 v[25:26], v[3:4], off glc
	s_waitcnt vmcnt(0)
	global_atomic_cmpswap_x2 v[3:4], v2, v[25:28], s[2:3] offset:24 glc
	s_waitcnt vmcnt(0)
	buffer_wbinvl1_vol
	v_cmp_ne_u64_e32 vcc, v[3:4], v[27:28]
	s_and_saveexec_b64 s[22:23], vcc
	s_cbranch_execz .LBB3_181
; %bb.178:                              ;   in Loop: Header=BB3_120 Depth=2
	s_mov_b64 s[24:25], 0
.LBB3_179:                              ;   Parent Loop BB3_5 Depth=1
                                        ;     Parent Loop BB3_120 Depth=2
                                        ; =>    This Inner Loop Header: Depth=3
	s_sleep 1
	global_load_dwordx2 v[25:26], v2, s[2:3] offset:40
	global_load_dwordx2 v[31:32], v2, s[2:3]
	v_mov_b32_e32 v28, v4
	v_mov_b32_e32 v27, v3
	s_waitcnt vmcnt(1)
	v_and_b32_e32 v1, v25, v27
	s_waitcnt vmcnt(0)
	v_mad_u64_u32 v[3:4], s[26:27], v1, 24, v[31:32]
	v_and_b32_e32 v25, v26, v28
	v_mov_b32_e32 v1, v4
	v_mad_u64_u32 v[25:26], s[26:27], v25, 24, v[1:2]
	v_mov_b32_e32 v4, v25
	global_load_dwordx2 v[25:26], v[3:4], off glc
	s_waitcnt vmcnt(0)
	global_atomic_cmpswap_x2 v[3:4], v2, v[25:28], s[2:3] offset:24 glc
	s_waitcnt vmcnt(0)
	buffer_wbinvl1_vol
	v_cmp_eq_u64_e32 vcc, v[3:4], v[27:28]
	s_or_b64 s[24:25], vcc, s[24:25]
	s_andn2_b64 exec, exec, s[24:25]
	s_cbranch_execnz .LBB3_179
; %bb.180:                              ;   in Loop: Header=BB3_120 Depth=2
	s_or_b64 exec, exec, s[24:25]
.LBB3_181:                              ;   in Loop: Header=BB3_120 Depth=2
	s_or_b64 exec, exec, s[22:23]
.LBB3_182:                              ;   in Loop: Header=BB3_120 Depth=2
	s_or_b64 exec, exec, s[20:21]
	global_load_dwordx2 v[31:32], v2, s[2:3] offset:40
	global_load_dwordx4 v[25:28], v2, s[2:3]
	v_readfirstlane_b32 s21, v4
	v_readfirstlane_b32 s20, v3
	s_mov_b64 s[22:23], exec
	s_waitcnt vmcnt(1)
	v_readfirstlane_b32 s24, v31
	v_readfirstlane_b32 s25, v32
	s_and_b64 s[24:25], s[24:25], s[20:21]
	s_mul_i32 s26, s25, 24
	s_mul_hi_u32 s27, s24, 24
	s_mul_i32 s33, s24, 24
	s_add_i32 s26, s27, s26
	v_mov_b32_e32 v1, s26
	s_waitcnt vmcnt(0)
	v_add_co_u32_e32 v31, vcc, s33, v25
	v_addc_co_u32_e32 v32, vcc, v26, v1, vcc
	s_and_saveexec_b64 s[26:27], s[0:1]
	s_cbranch_execz .LBB3_184
; %bb.183:                              ;   in Loop: Header=BB3_120 Depth=2
	v_mov_b32_e32 v3, s22
	v_mov_b32_e32 v4, s23
	global_store_dwordx4 v[31:32], v[3:6], off offset:8
.LBB3_184:                              ;   in Loop: Header=BB3_120 Depth=2
	s_or_b64 exec, exec, s[26:27]
	s_lshl_b64 s[22:23], s[24:25], 12
	v_mov_b32_e32 v1, s23
	v_add_co_u32_e32 v27, vcc, s22, v27
	v_addc_co_u32_e32 v28, vcc, v28, v1, vcc
	v_cmp_lt_u64_e64 vcc, s[16:17], 57
	s_lshl_b32 s22, s18, 2
	v_cndmask_b32_e32 v1, 0, v33, vcc
	s_add_i32 s22, s22, 28
	v_and_b32_e32 v3, 0xffffff1f, v9
	s_and_b32 s22, s22, 0x1e0
	v_or_b32_e32 v1, v3, v1
	v_or_b32_e32 v9, s22, v1
	v_readfirstlane_b32 s22, v27
	v_readfirstlane_b32 s23, v28
	s_nop 4
	global_store_dwordx4 v38, v[9:12], s[22:23]
	global_store_dwordx4 v38, v[13:16], s[22:23] offset:16
	global_store_dwordx4 v38, v[17:20], s[22:23] offset:32
	;; [unrolled: 1-line block ×3, first 2 shown]
	s_and_saveexec_b64 s[22:23], s[0:1]
	s_cbranch_execz .LBB3_192
; %bb.185:                              ;   in Loop: Header=BB3_120 Depth=2
	global_load_dwordx2 v[13:14], v2, s[2:3] offset:32 glc
	global_load_dwordx2 v[3:4], v2, s[2:3] offset:40
	v_mov_b32_e32 v11, s20
	v_mov_b32_e32 v12, s21
	s_waitcnt vmcnt(0)
	v_readfirstlane_b32 s24, v3
	v_readfirstlane_b32 s25, v4
	s_and_b64 s[24:25], s[24:25], s[20:21]
	s_mul_i32 s25, s25, 24
	s_mul_hi_u32 s26, s24, 24
	s_mul_i32 s24, s24, 24
	s_add_i32 s25, s26, s25
	v_mov_b32_e32 v1, s25
	v_add_co_u32_e32 v3, vcc, s24, v25
	v_addc_co_u32_e32 v4, vcc, v26, v1, vcc
	global_store_dwordx2 v[3:4], v[13:14], off
	s_waitcnt vmcnt(0)
	global_atomic_cmpswap_x2 v[11:12], v2, v[11:14], s[2:3] offset:32 glc
	s_waitcnt vmcnt(0)
	v_cmp_ne_u64_e32 vcc, v[11:12], v[13:14]
	s_and_saveexec_b64 s[24:25], vcc
	s_cbranch_execz .LBB3_188
; %bb.186:                              ;   in Loop: Header=BB3_120 Depth=2
	s_mov_b64 s[26:27], 0
.LBB3_187:                              ;   Parent Loop BB3_5 Depth=1
                                        ;     Parent Loop BB3_120 Depth=2
                                        ; =>    This Inner Loop Header: Depth=3
	s_sleep 1
	global_store_dwordx2 v[3:4], v[11:12], off
	v_mov_b32_e32 v9, s20
	v_mov_b32_e32 v10, s21
	s_waitcnt vmcnt(0)
	global_atomic_cmpswap_x2 v[9:10], v2, v[9:12], s[2:3] offset:32 glc
	s_waitcnt vmcnt(0)
	v_cmp_eq_u64_e32 vcc, v[9:10], v[11:12]
	v_mov_b32_e32 v12, v10
	s_or_b64 s[26:27], vcc, s[26:27]
	v_mov_b32_e32 v11, v9
	s_andn2_b64 exec, exec, s[26:27]
	s_cbranch_execnz .LBB3_187
.LBB3_188:                              ;   in Loop: Header=BB3_120 Depth=2
	s_or_b64 exec, exec, s[24:25]
	global_load_dwordx2 v[3:4], v2, s[2:3] offset:16
	s_mov_b64 s[26:27], exec
	v_mbcnt_lo_u32_b32 v1, s26, 0
	v_mbcnt_hi_u32_b32 v1, s27, v1
	v_cmp_eq_u32_e32 vcc, 0, v1
	s_and_saveexec_b64 s[24:25], vcc
	s_cbranch_execz .LBB3_190
; %bb.189:                              ;   in Loop: Header=BB3_120 Depth=2
	s_bcnt1_i32_b64 s26, s[26:27]
	v_mov_b32_e32 v1, s26
	s_waitcnt vmcnt(0)
	global_atomic_add_x2 v[3:4], v[1:2], off offset:8
.LBB3_190:                              ;   in Loop: Header=BB3_120 Depth=2
	s_or_b64 exec, exec, s[24:25]
	s_waitcnt vmcnt(0)
	global_load_dwordx2 v[9:10], v[3:4], off offset:16
	s_waitcnt vmcnt(0)
	v_cmp_eq_u64_e32 vcc, 0, v[9:10]
	s_cbranch_vccnz .LBB3_192
; %bb.191:                              ;   in Loop: Header=BB3_120 Depth=2
	global_load_dword v1, v[3:4], off offset:24
	s_waitcnt vmcnt(0)
	v_readfirstlane_b32 s24, v1
	s_and_b32 m0, s24, 0xffffff
	global_store_dwordx2 v[9:10], v[1:2], off
	s_sendmsg sendmsg(MSG_INTERRUPT)
.LBB3_192:                              ;   in Loop: Header=BB3_120 Depth=2
	s_or_b64 exec, exec, s[22:23]
	v_add_co_u32_e32 v3, vcc, v27, v38
	v_addc_co_u32_e32 v4, vcc, 0, v28, vcc
	s_branch .LBB3_196
.LBB3_193:                              ;   in Loop: Header=BB3_196 Depth=3
	s_or_b64 exec, exec, s[22:23]
	v_readfirstlane_b32 s22, v1
	s_cmp_eq_u32 s22, 0
	s_cbranch_scc1 .LBB3_195
; %bb.194:                              ;   in Loop: Header=BB3_196 Depth=3
	s_sleep 1
	s_cbranch_execnz .LBB3_196
	s_branch .LBB3_198
.LBB3_195:                              ;   in Loop: Header=BB3_120 Depth=2
	s_branch .LBB3_198
.LBB3_196:                              ;   Parent Loop BB3_5 Depth=1
                                        ;     Parent Loop BB3_120 Depth=2
                                        ; =>    This Inner Loop Header: Depth=3
	v_mov_b32_e32 v1, 1
	s_and_saveexec_b64 s[22:23], s[0:1]
	s_cbranch_execz .LBB3_193
; %bb.197:                              ;   in Loop: Header=BB3_196 Depth=3
	global_load_dword v1, v[31:32], off offset:20 glc
	s_waitcnt vmcnt(0)
	buffer_wbinvl1_vol
	v_and_b32_e32 v1, 1, v1
	s_branch .LBB3_193
.LBB3_198:                              ;   in Loop: Header=BB3_120 Depth=2
	global_load_dwordx2 v[9:10], v[3:4], off
	s_and_saveexec_b64 s[22:23], s[0:1]
	s_cbranch_execz .LBB3_119
; %bb.199:                              ;   in Loop: Header=BB3_120 Depth=2
	global_load_dwordx2 v[3:4], v2, s[2:3] offset:40
	global_load_dwordx2 v[15:16], v2, s[2:3] offset:24 glc
	global_load_dwordx2 v[11:12], v2, s[2:3]
	s_waitcnt vmcnt(2)
	v_readfirstlane_b32 s24, v3
	v_readfirstlane_b32 s25, v4
	s_add_u32 s26, s24, 1
	s_addc_u32 s27, s25, 0
	s_add_u32 s0, s26, s20
	s_addc_u32 s1, s27, s21
	s_cmp_eq_u64 s[0:1], 0
	s_cselect_b32 s1, s27, s1
	s_cselect_b32 s0, s26, s0
	s_and_b64 s[20:21], s[0:1], s[24:25]
	s_mul_i32 s21, s21, 24
	s_mul_hi_u32 s24, s20, 24
	s_mul_i32 s20, s20, 24
	s_add_i32 s21, s24, s21
	v_mov_b32_e32 v1, s21
	s_waitcnt vmcnt(0)
	v_add_co_u32_e32 v3, vcc, s20, v11
	v_addc_co_u32_e32 v4, vcc, v12, v1, vcc
	v_mov_b32_e32 v13, s0
	global_store_dwordx2 v[3:4], v[15:16], off
	v_mov_b32_e32 v14, s1
	s_waitcnt vmcnt(0)
	global_atomic_cmpswap_x2 v[13:14], v2, v[13:16], s[2:3] offset:24 glc
	s_waitcnt vmcnt(0)
	v_cmp_ne_u64_e32 vcc, v[13:14], v[15:16]
	s_and_b64 exec, exec, vcc
	s_cbranch_execz .LBB3_119
; %bb.200:                              ;   in Loop: Header=BB3_120 Depth=2
	s_mov_b64 s[20:21], 0
.LBB3_201:                              ;   Parent Loop BB3_5 Depth=1
                                        ;     Parent Loop BB3_120 Depth=2
                                        ; =>    This Inner Loop Header: Depth=3
	s_sleep 1
	global_store_dwordx2 v[3:4], v[13:14], off
	v_mov_b32_e32 v11, s0
	v_mov_b32_e32 v12, s1
	s_waitcnt vmcnt(0)
	global_atomic_cmpswap_x2 v[11:12], v2, v[11:14], s[2:3] offset:24 glc
	s_waitcnt vmcnt(0)
	v_cmp_eq_u64_e32 vcc, v[11:12], v[13:14]
	v_mov_b32_e32 v14, v12
	s_or_b64 s[20:21], vcc, s[20:21]
	v_mov_b32_e32 v13, v11
	s_andn2_b64 exec, exec, s[20:21]
	s_cbranch_execnz .LBB3_201
	s_branch .LBB3_119
.LBB3_202:                              ;   in Loop: Header=BB3_5 Depth=1
	s_branch .LBB3_259
.LBB3_203:                              ;   in Loop: Header=BB3_5 Depth=1
                                        ; implicit-def: $vgpr7_vgpr8
	s_cbranch_execz .LBB3_117
; %bb.204:                              ;   in Loop: Header=BB3_5 Depth=1
	v_readfirstlane_b32 s0, v36
	v_mov_b32_e32 v3, 0
	v_mov_b32_e32 v4, 0
	v_cmp_eq_u32_e64 s[0:1], s0, v36
	s_and_saveexec_b64 s[14:15], s[0:1]
	s_cbranch_execz .LBB3_210
; %bb.205:                              ;   in Loop: Header=BB3_5 Depth=1
	global_load_dwordx2 v[9:10], v2, s[2:3] offset:24 glc
	s_waitcnt vmcnt(0)
	buffer_wbinvl1_vol
	global_load_dwordx2 v[3:4], v2, s[2:3] offset:40
	global_load_dwordx2 v[7:8], v2, s[2:3]
	s_waitcnt vmcnt(1)
	v_and_b32_e32 v1, v3, v9
	v_and_b32_e32 v3, v4, v10
	v_mul_lo_u32 v3, v3, 24
	v_mul_hi_u32 v4, v1, 24
	v_mul_lo_u32 v1, v1, 24
	v_add_u32_e32 v4, v4, v3
	s_waitcnt vmcnt(0)
	v_add_co_u32_e32 v3, vcc, v7, v1
	v_addc_co_u32_e32 v4, vcc, v8, v4, vcc
	global_load_dwordx2 v[7:8], v[3:4], off glc
	s_waitcnt vmcnt(0)
	global_atomic_cmpswap_x2 v[3:4], v2, v[7:10], s[2:3] offset:24 glc
	s_waitcnt vmcnt(0)
	buffer_wbinvl1_vol
	v_cmp_ne_u64_e32 vcc, v[3:4], v[9:10]
	s_and_saveexec_b64 s[16:17], vcc
	s_cbranch_execz .LBB3_209
; %bb.206:                              ;   in Loop: Header=BB3_5 Depth=1
	s_mov_b64 s[18:19], 0
.LBB3_207:                              ;   Parent Loop BB3_5 Depth=1
                                        ; =>  This Inner Loop Header: Depth=2
	s_sleep 1
	global_load_dwordx2 v[7:8], v2, s[2:3] offset:40
	global_load_dwordx2 v[13:14], v2, s[2:3]
	v_mov_b32_e32 v10, v4
	v_mov_b32_e32 v9, v3
	s_waitcnt vmcnt(1)
	v_and_b32_e32 v1, v7, v9
	s_waitcnt vmcnt(0)
	v_mad_u64_u32 v[3:4], s[20:21], v1, 24, v[13:14]
	v_and_b32_e32 v7, v8, v10
	v_mov_b32_e32 v1, v4
	v_mad_u64_u32 v[7:8], s[20:21], v7, 24, v[1:2]
	v_mov_b32_e32 v4, v7
	global_load_dwordx2 v[7:8], v[3:4], off glc
	s_waitcnt vmcnt(0)
	global_atomic_cmpswap_x2 v[3:4], v2, v[7:10], s[2:3] offset:24 glc
	s_waitcnt vmcnt(0)
	buffer_wbinvl1_vol
	v_cmp_eq_u64_e32 vcc, v[3:4], v[9:10]
	s_or_b64 s[18:19], vcc, s[18:19]
	s_andn2_b64 exec, exec, s[18:19]
	s_cbranch_execnz .LBB3_207
; %bb.208:                              ;   in Loop: Header=BB3_5 Depth=1
	s_or_b64 exec, exec, s[18:19]
.LBB3_209:                              ;   in Loop: Header=BB3_5 Depth=1
	s_or_b64 exec, exec, s[16:17]
.LBB3_210:                              ;   in Loop: Header=BB3_5 Depth=1
	s_or_b64 exec, exec, s[14:15]
	global_load_dwordx2 v[13:14], v2, s[2:3] offset:40
	global_load_dwordx4 v[7:10], v2, s[2:3]
	v_readfirstlane_b32 s15, v4
	v_readfirstlane_b32 s14, v3
	s_mov_b64 s[16:17], exec
	s_waitcnt vmcnt(1)
	v_readfirstlane_b32 s18, v13
	v_readfirstlane_b32 s19, v14
	s_and_b64 s[18:19], s[18:19], s[14:15]
	s_mul_i32 s20, s19, 24
	s_mul_hi_u32 s21, s18, 24
	s_mul_i32 s22, s18, 24
	s_add_i32 s20, s21, s20
	v_mov_b32_e32 v1, s20
	s_waitcnt vmcnt(0)
	v_add_co_u32_e32 v15, vcc, s22, v7
	v_addc_co_u32_e32 v16, vcc, v8, v1, vcc
	s_and_saveexec_b64 s[20:21], s[0:1]
	s_cbranch_execz .LBB3_212
; %bb.211:                              ;   in Loop: Header=BB3_5 Depth=1
	v_mov_b32_e32 v3, s16
	v_mov_b32_e32 v4, s17
	global_store_dwordx4 v[15:16], v[3:6], off offset:8
.LBB3_212:                              ;   in Loop: Header=BB3_5 Depth=1
	s_or_b64 exec, exec, s[20:21]
	s_lshl_b64 s[16:17], s[18:19], 12
	v_mov_b32_e32 v1, s17
	v_add_co_u32_e32 v17, vcc, s16, v9
	v_addc_co_u32_e32 v18, vcc, v10, v1, vcc
	v_and_or_b32 v11, v11, s29, 32
	v_mov_b32_e32 v13, v2
	v_mov_b32_e32 v14, v2
	v_readfirstlane_b32 s16, v17
	v_readfirstlane_b32 s17, v18
	s_nop 4
	global_store_dwordx4 v38, v[11:14], s[16:17]
	s_nop 0
	v_mov_b32_e32 v12, s11
	v_mov_b32_e32 v11, s10
	v_mov_b32_e32 v10, s9
	v_mov_b32_e32 v9, s8
	global_store_dwordx4 v38, v[9:12], s[16:17] offset:16
	global_store_dwordx4 v38, v[9:12], s[16:17] offset:32
	;; [unrolled: 1-line block ×3, first 2 shown]
	s_and_saveexec_b64 s[16:17], s[0:1]
	s_cbranch_execz .LBB3_220
; %bb.213:                              ;   in Loop: Header=BB3_5 Depth=1
	global_load_dwordx2 v[11:12], v2, s[2:3] offset:32 glc
	global_load_dwordx2 v[3:4], v2, s[2:3] offset:40
	v_mov_b32_e32 v9, s14
	v_mov_b32_e32 v10, s15
	s_waitcnt vmcnt(0)
	v_readfirstlane_b32 s18, v3
	v_readfirstlane_b32 s19, v4
	s_and_b64 s[18:19], s[18:19], s[14:15]
	s_mul_i32 s19, s19, 24
	s_mul_hi_u32 s20, s18, 24
	s_mul_i32 s18, s18, 24
	s_add_i32 s19, s20, s19
	v_mov_b32_e32 v1, s19
	v_add_co_u32_e32 v3, vcc, s18, v7
	v_addc_co_u32_e32 v4, vcc, v8, v1, vcc
	global_store_dwordx2 v[3:4], v[11:12], off
	s_waitcnt vmcnt(0)
	global_atomic_cmpswap_x2 v[9:10], v2, v[9:12], s[2:3] offset:32 glc
	s_waitcnt vmcnt(0)
	v_cmp_ne_u64_e32 vcc, v[9:10], v[11:12]
	s_and_saveexec_b64 s[18:19], vcc
	s_cbranch_execz .LBB3_216
; %bb.214:                              ;   in Loop: Header=BB3_5 Depth=1
	s_mov_b64 s[20:21], 0
.LBB3_215:                              ;   Parent Loop BB3_5 Depth=1
                                        ; =>  This Inner Loop Header: Depth=2
	s_sleep 1
	global_store_dwordx2 v[3:4], v[9:10], off
	v_mov_b32_e32 v7, s14
	v_mov_b32_e32 v8, s15
	s_waitcnt vmcnt(0)
	global_atomic_cmpswap_x2 v[7:8], v2, v[7:10], s[2:3] offset:32 glc
	s_waitcnt vmcnt(0)
	v_cmp_eq_u64_e32 vcc, v[7:8], v[9:10]
	v_mov_b32_e32 v10, v8
	s_or_b64 s[20:21], vcc, s[20:21]
	v_mov_b32_e32 v9, v7
	s_andn2_b64 exec, exec, s[20:21]
	s_cbranch_execnz .LBB3_215
.LBB3_216:                              ;   in Loop: Header=BB3_5 Depth=1
	s_or_b64 exec, exec, s[18:19]
	global_load_dwordx2 v[3:4], v2, s[2:3] offset:16
	s_mov_b64 s[20:21], exec
	v_mbcnt_lo_u32_b32 v1, s20, 0
	v_mbcnt_hi_u32_b32 v1, s21, v1
	v_cmp_eq_u32_e32 vcc, 0, v1
	s_and_saveexec_b64 s[18:19], vcc
	s_cbranch_execz .LBB3_218
; %bb.217:                              ;   in Loop: Header=BB3_5 Depth=1
	s_bcnt1_i32_b64 s20, s[20:21]
	v_mov_b32_e32 v1, s20
	s_waitcnt vmcnt(0)
	global_atomic_add_x2 v[3:4], v[1:2], off offset:8
.LBB3_218:                              ;   in Loop: Header=BB3_5 Depth=1
	s_or_b64 exec, exec, s[18:19]
	s_waitcnt vmcnt(0)
	global_load_dwordx2 v[7:8], v[3:4], off offset:16
	s_waitcnt vmcnt(0)
	v_cmp_eq_u64_e32 vcc, 0, v[7:8]
	s_cbranch_vccnz .LBB3_220
; %bb.219:                              ;   in Loop: Header=BB3_5 Depth=1
	global_load_dword v1, v[3:4], off offset:24
	s_waitcnt vmcnt(0)
	v_readfirstlane_b32 s18, v1
	s_and_b32 m0, s18, 0xffffff
	global_store_dwordx2 v[7:8], v[1:2], off
	s_sendmsg sendmsg(MSG_INTERRUPT)
.LBB3_220:                              ;   in Loop: Header=BB3_5 Depth=1
	s_or_b64 exec, exec, s[16:17]
	v_add_co_u32_e32 v3, vcc, v17, v38
	v_addc_co_u32_e32 v4, vcc, 0, v18, vcc
	s_branch .LBB3_224
.LBB3_221:                              ;   in Loop: Header=BB3_224 Depth=2
	s_or_b64 exec, exec, s[16:17]
	v_readfirstlane_b32 s16, v1
	s_cmp_eq_u32 s16, 0
	s_cbranch_scc1 .LBB3_223
; %bb.222:                              ;   in Loop: Header=BB3_224 Depth=2
	s_sleep 1
	s_cbranch_execnz .LBB3_224
	s_branch .LBB3_226
.LBB3_223:                              ;   in Loop: Header=BB3_5 Depth=1
	s_branch .LBB3_226
.LBB3_224:                              ;   Parent Loop BB3_5 Depth=1
                                        ; =>  This Inner Loop Header: Depth=2
	v_mov_b32_e32 v1, 1
	s_and_saveexec_b64 s[16:17], s[0:1]
	s_cbranch_execz .LBB3_221
; %bb.225:                              ;   in Loop: Header=BB3_224 Depth=2
	global_load_dword v1, v[15:16], off offset:20 glc
	s_waitcnt vmcnt(0)
	buffer_wbinvl1_vol
	v_and_b32_e32 v1, 1, v1
	s_branch .LBB3_221
.LBB3_226:                              ;   in Loop: Header=BB3_5 Depth=1
	global_load_dwordx2 v[7:8], v[3:4], off
	s_and_saveexec_b64 s[16:17], s[0:1]
	s_cbranch_execz .LBB3_230
; %bb.227:                              ;   in Loop: Header=BB3_5 Depth=1
	global_load_dwordx2 v[3:4], v2, s[2:3] offset:40
	global_load_dwordx2 v[13:14], v2, s[2:3] offset:24 glc
	global_load_dwordx2 v[9:10], v2, s[2:3]
	s_waitcnt vmcnt(2)
	v_readfirstlane_b32 s18, v3
	v_readfirstlane_b32 s19, v4
	s_add_u32 s20, s18, 1
	s_addc_u32 s21, s19, 0
	s_add_u32 s0, s20, s14
	s_addc_u32 s1, s21, s15
	s_cmp_eq_u64 s[0:1], 0
	s_cselect_b32 s1, s21, s1
	s_cselect_b32 s0, s20, s0
	s_and_b64 s[14:15], s[0:1], s[18:19]
	s_mul_i32 s15, s15, 24
	s_mul_hi_u32 s18, s14, 24
	s_mul_i32 s14, s14, 24
	s_add_i32 s15, s18, s15
	v_mov_b32_e32 v1, s15
	s_waitcnt vmcnt(0)
	v_add_co_u32_e32 v3, vcc, s14, v9
	v_addc_co_u32_e32 v4, vcc, v10, v1, vcc
	v_mov_b32_e32 v11, s0
	global_store_dwordx2 v[3:4], v[13:14], off
	v_mov_b32_e32 v12, s1
	s_waitcnt vmcnt(0)
	global_atomic_cmpswap_x2 v[11:12], v2, v[11:14], s[2:3] offset:24 glc
	s_waitcnt vmcnt(0)
	v_cmp_ne_u64_e32 vcc, v[11:12], v[13:14]
	s_and_b64 exec, exec, vcc
	s_cbranch_execz .LBB3_230
; %bb.228:                              ;   in Loop: Header=BB3_5 Depth=1
	s_mov_b64 s[14:15], 0
.LBB3_229:                              ;   Parent Loop BB3_5 Depth=1
                                        ; =>  This Inner Loop Header: Depth=2
	s_sleep 1
	global_store_dwordx2 v[3:4], v[11:12], off
	v_mov_b32_e32 v9, s0
	v_mov_b32_e32 v10, s1
	s_waitcnt vmcnt(0)
	global_atomic_cmpswap_x2 v[9:10], v2, v[9:12], s[2:3] offset:24 glc
	s_waitcnt vmcnt(0)
	v_cmp_eq_u64_e32 vcc, v[9:10], v[11:12]
	v_mov_b32_e32 v12, v10
	s_or_b64 s[14:15], vcc, s[14:15]
	v_mov_b32_e32 v11, v9
	s_andn2_b64 exec, exec, s[14:15]
	s_cbranch_execnz .LBB3_229
.LBB3_230:                              ;   in Loop: Header=BB3_5 Depth=1
	s_or_b64 exec, exec, s[16:17]
	s_and_b64 vcc, exec, s[12:13]
	s_cbranch_vccnz .LBB3_118
.LBB3_231:                              ;   in Loop: Header=BB3_5 Depth=1
                                        ; implicit-def: $vgpr9_vgpr10
	s_cbranch_execz .LBB3_259
; %bb.232:                              ;   in Loop: Header=BB3_5 Depth=1
	v_readfirstlane_b32 s0, v36
	v_mov_b32_e32 v3, 0
	v_mov_b32_e32 v4, 0
	v_cmp_eq_u32_e64 s[0:1], s0, v36
	s_and_saveexec_b64 s[14:15], s[0:1]
	s_cbranch_execz .LBB3_238
; %bb.233:                              ;   in Loop: Header=BB3_5 Depth=1
	global_load_dwordx2 v[11:12], v2, s[2:3] offset:24 glc
	s_waitcnt vmcnt(0)
	buffer_wbinvl1_vol
	global_load_dwordx2 v[3:4], v2, s[2:3] offset:40
	global_load_dwordx2 v[9:10], v2, s[2:3]
	s_waitcnt vmcnt(1)
	v_and_b32_e32 v1, v3, v11
	v_and_b32_e32 v3, v4, v12
	v_mul_lo_u32 v3, v3, 24
	v_mul_hi_u32 v4, v1, 24
	v_mul_lo_u32 v1, v1, 24
	v_add_u32_e32 v4, v4, v3
	s_waitcnt vmcnt(0)
	v_add_co_u32_e32 v3, vcc, v9, v1
	v_addc_co_u32_e32 v4, vcc, v10, v4, vcc
	global_load_dwordx2 v[9:10], v[3:4], off glc
	s_waitcnt vmcnt(0)
	global_atomic_cmpswap_x2 v[3:4], v2, v[9:12], s[2:3] offset:24 glc
	s_waitcnt vmcnt(0)
	buffer_wbinvl1_vol
	v_cmp_ne_u64_e32 vcc, v[3:4], v[11:12]
	s_and_saveexec_b64 s[16:17], vcc
	s_cbranch_execz .LBB3_237
; %bb.234:                              ;   in Loop: Header=BB3_5 Depth=1
	s_mov_b64 s[18:19], 0
.LBB3_235:                              ;   Parent Loop BB3_5 Depth=1
                                        ; =>  This Inner Loop Header: Depth=2
	s_sleep 1
	global_load_dwordx2 v[9:10], v2, s[2:3] offset:40
	global_load_dwordx2 v[13:14], v2, s[2:3]
	v_mov_b32_e32 v12, v4
	v_mov_b32_e32 v11, v3
	s_waitcnt vmcnt(1)
	v_and_b32_e32 v1, v9, v11
	s_waitcnt vmcnt(0)
	v_mad_u64_u32 v[3:4], s[20:21], v1, 24, v[13:14]
	v_and_b32_e32 v9, v10, v12
	v_mov_b32_e32 v1, v4
	v_mad_u64_u32 v[9:10], s[20:21], v9, 24, v[1:2]
	v_mov_b32_e32 v4, v9
	global_load_dwordx2 v[9:10], v[3:4], off glc
	s_waitcnt vmcnt(0)
	global_atomic_cmpswap_x2 v[3:4], v2, v[9:12], s[2:3] offset:24 glc
	s_waitcnt vmcnt(0)
	buffer_wbinvl1_vol
	v_cmp_eq_u64_e32 vcc, v[3:4], v[11:12]
	s_or_b64 s[18:19], vcc, s[18:19]
	s_andn2_b64 exec, exec, s[18:19]
	s_cbranch_execnz .LBB3_235
; %bb.236:                              ;   in Loop: Header=BB3_5 Depth=1
	s_or_b64 exec, exec, s[18:19]
.LBB3_237:                              ;   in Loop: Header=BB3_5 Depth=1
	s_or_b64 exec, exec, s[16:17]
.LBB3_238:                              ;   in Loop: Header=BB3_5 Depth=1
	s_or_b64 exec, exec, s[14:15]
	global_load_dwordx2 v[9:10], v2, s[2:3] offset:40
	global_load_dwordx4 v[11:14], v2, s[2:3]
	v_readfirstlane_b32 s15, v4
	v_readfirstlane_b32 s14, v3
	s_mov_b64 s[16:17], exec
	s_waitcnt vmcnt(1)
	v_readfirstlane_b32 s18, v9
	v_readfirstlane_b32 s19, v10
	s_and_b64 s[18:19], s[18:19], s[14:15]
	s_mul_i32 s20, s19, 24
	s_mul_hi_u32 s21, s18, 24
	s_mul_i32 s22, s18, 24
	s_add_i32 s20, s21, s20
	v_mov_b32_e32 v1, s20
	s_waitcnt vmcnt(0)
	v_add_co_u32_e32 v15, vcc, s22, v11
	v_addc_co_u32_e32 v16, vcc, v12, v1, vcc
	s_and_saveexec_b64 s[20:21], s[0:1]
	s_cbranch_execz .LBB3_240
; %bb.239:                              ;   in Loop: Header=BB3_5 Depth=1
	v_mov_b32_e32 v3, s16
	v_mov_b32_e32 v4, s17
	global_store_dwordx4 v[15:16], v[3:6], off offset:8
.LBB3_240:                              ;   in Loop: Header=BB3_5 Depth=1
	s_or_b64 exec, exec, s[20:21]
	s_lshl_b64 s[16:17], s[18:19], 12
	v_mov_b32_e32 v1, s17
	v_add_co_u32_e32 v13, vcc, s16, v13
	v_addc_co_u32_e32 v14, vcc, v14, v1, vcc
	v_and_or_b32 v7, v7, s29, 32
	v_mov_b32_e32 v9, v2
	v_mov_b32_e32 v10, v2
	v_readfirstlane_b32 s16, v13
	v_readfirstlane_b32 s17, v14
	s_nop 4
	global_store_dwordx4 v38, v[7:10], s[16:17]
	s_nop 0
	v_mov_b32_e32 v7, s8
	v_mov_b32_e32 v8, s9
	;; [unrolled: 1-line block ×4, first 2 shown]
	global_store_dwordx4 v38, v[7:10], s[16:17] offset:16
	global_store_dwordx4 v38, v[7:10], s[16:17] offset:32
	;; [unrolled: 1-line block ×3, first 2 shown]
	s_and_saveexec_b64 s[16:17], s[0:1]
	s_cbranch_execz .LBB3_248
; %bb.241:                              ;   in Loop: Header=BB3_5 Depth=1
	global_load_dwordx2 v[19:20], v2, s[2:3] offset:32 glc
	global_load_dwordx2 v[3:4], v2, s[2:3] offset:40
	v_mov_b32_e32 v17, s14
	v_mov_b32_e32 v18, s15
	s_waitcnt vmcnt(0)
	v_readfirstlane_b32 s18, v3
	v_readfirstlane_b32 s19, v4
	s_and_b64 s[18:19], s[18:19], s[14:15]
	s_mul_i32 s19, s19, 24
	s_mul_hi_u32 s20, s18, 24
	s_mul_i32 s18, s18, 24
	s_add_i32 s19, s20, s19
	v_mov_b32_e32 v1, s19
	v_add_co_u32_e32 v3, vcc, s18, v11
	v_addc_co_u32_e32 v4, vcc, v12, v1, vcc
	global_store_dwordx2 v[3:4], v[19:20], off
	s_waitcnt vmcnt(0)
	global_atomic_cmpswap_x2 v[9:10], v2, v[17:20], s[2:3] offset:32 glc
	s_waitcnt vmcnt(0)
	v_cmp_ne_u64_e32 vcc, v[9:10], v[19:20]
	s_and_saveexec_b64 s[18:19], vcc
	s_cbranch_execz .LBB3_244
; %bb.242:                              ;   in Loop: Header=BB3_5 Depth=1
	s_mov_b64 s[20:21], 0
.LBB3_243:                              ;   Parent Loop BB3_5 Depth=1
                                        ; =>  This Inner Loop Header: Depth=2
	s_sleep 1
	global_store_dwordx2 v[3:4], v[9:10], off
	v_mov_b32_e32 v7, s14
	v_mov_b32_e32 v8, s15
	s_waitcnt vmcnt(0)
	global_atomic_cmpswap_x2 v[7:8], v2, v[7:10], s[2:3] offset:32 glc
	s_waitcnt vmcnt(0)
	v_cmp_eq_u64_e32 vcc, v[7:8], v[9:10]
	v_mov_b32_e32 v10, v8
	s_or_b64 s[20:21], vcc, s[20:21]
	v_mov_b32_e32 v9, v7
	s_andn2_b64 exec, exec, s[20:21]
	s_cbranch_execnz .LBB3_243
.LBB3_244:                              ;   in Loop: Header=BB3_5 Depth=1
	s_or_b64 exec, exec, s[18:19]
	global_load_dwordx2 v[3:4], v2, s[2:3] offset:16
	s_mov_b64 s[20:21], exec
	v_mbcnt_lo_u32_b32 v1, s20, 0
	v_mbcnt_hi_u32_b32 v1, s21, v1
	v_cmp_eq_u32_e32 vcc, 0, v1
	s_and_saveexec_b64 s[18:19], vcc
	s_cbranch_execz .LBB3_246
; %bb.245:                              ;   in Loop: Header=BB3_5 Depth=1
	s_bcnt1_i32_b64 s20, s[20:21]
	v_mov_b32_e32 v1, s20
	s_waitcnt vmcnt(0)
	global_atomic_add_x2 v[3:4], v[1:2], off offset:8
.LBB3_246:                              ;   in Loop: Header=BB3_5 Depth=1
	s_or_b64 exec, exec, s[18:19]
	s_waitcnt vmcnt(0)
	global_load_dwordx2 v[7:8], v[3:4], off offset:16
	s_waitcnt vmcnt(0)
	v_cmp_eq_u64_e32 vcc, 0, v[7:8]
	s_cbranch_vccnz .LBB3_248
; %bb.247:                              ;   in Loop: Header=BB3_5 Depth=1
	global_load_dword v1, v[3:4], off offset:24
	s_waitcnt vmcnt(0)
	v_readfirstlane_b32 s18, v1
	s_and_b32 m0, s18, 0xffffff
	global_store_dwordx2 v[7:8], v[1:2], off
	s_sendmsg sendmsg(MSG_INTERRUPT)
.LBB3_248:                              ;   in Loop: Header=BB3_5 Depth=1
	s_or_b64 exec, exec, s[16:17]
	v_add_co_u32_e32 v3, vcc, v13, v38
	v_addc_co_u32_e32 v4, vcc, 0, v14, vcc
	s_branch .LBB3_252
.LBB3_249:                              ;   in Loop: Header=BB3_252 Depth=2
	s_or_b64 exec, exec, s[16:17]
	v_readfirstlane_b32 s16, v1
	s_cmp_eq_u32 s16, 0
	s_cbranch_scc1 .LBB3_251
; %bb.250:                              ;   in Loop: Header=BB3_252 Depth=2
	s_sleep 1
	s_cbranch_execnz .LBB3_252
	s_branch .LBB3_254
.LBB3_251:                              ;   in Loop: Header=BB3_5 Depth=1
	s_branch .LBB3_254
.LBB3_252:                              ;   Parent Loop BB3_5 Depth=1
                                        ; =>  This Inner Loop Header: Depth=2
	v_mov_b32_e32 v1, 1
	s_and_saveexec_b64 s[16:17], s[0:1]
	s_cbranch_execz .LBB3_249
; %bb.253:                              ;   in Loop: Header=BB3_252 Depth=2
	global_load_dword v1, v[15:16], off offset:20 glc
	s_waitcnt vmcnt(0)
	buffer_wbinvl1_vol
	v_and_b32_e32 v1, 1, v1
	s_branch .LBB3_249
.LBB3_254:                              ;   in Loop: Header=BB3_5 Depth=1
	global_load_dwordx2 v[9:10], v[3:4], off
	s_and_saveexec_b64 s[16:17], s[0:1]
	s_cbranch_execz .LBB3_258
; %bb.255:                              ;   in Loop: Header=BB3_5 Depth=1
	global_load_dwordx2 v[3:4], v2, s[2:3] offset:40
	global_load_dwordx2 v[15:16], v2, s[2:3] offset:24 glc
	global_load_dwordx2 v[7:8], v2, s[2:3]
	s_waitcnt vmcnt(2)
	v_readfirstlane_b32 s18, v3
	v_readfirstlane_b32 s19, v4
	s_add_u32 s20, s18, 1
	s_addc_u32 s21, s19, 0
	s_add_u32 s0, s20, s14
	s_addc_u32 s1, s21, s15
	s_cmp_eq_u64 s[0:1], 0
	s_cselect_b32 s1, s21, s1
	s_cselect_b32 s0, s20, s0
	s_and_b64 s[14:15], s[0:1], s[18:19]
	s_mul_i32 s15, s15, 24
	s_mul_hi_u32 s18, s14, 24
	s_mul_i32 s14, s14, 24
	s_add_i32 s15, s18, s15
	v_mov_b32_e32 v1, s15
	s_waitcnt vmcnt(0)
	v_add_co_u32_e32 v3, vcc, s14, v7
	v_addc_co_u32_e32 v4, vcc, v8, v1, vcc
	v_mov_b32_e32 v13, s0
	global_store_dwordx2 v[3:4], v[15:16], off
	v_mov_b32_e32 v14, s1
	s_waitcnt vmcnt(0)
	global_atomic_cmpswap_x2 v[13:14], v2, v[13:16], s[2:3] offset:24 glc
	s_waitcnt vmcnt(0)
	v_cmp_ne_u64_e32 vcc, v[13:14], v[15:16]
	s_and_b64 exec, exec, vcc
	s_cbranch_execz .LBB3_258
; %bb.256:                              ;   in Loop: Header=BB3_5 Depth=1
	s_mov_b64 s[14:15], 0
.LBB3_257:                              ;   Parent Loop BB3_5 Depth=1
                                        ; =>  This Inner Loop Header: Depth=2
	s_sleep 1
	global_store_dwordx2 v[3:4], v[13:14], off
	v_mov_b32_e32 v11, s0
	v_mov_b32_e32 v12, s1
	s_waitcnt vmcnt(0)
	global_atomic_cmpswap_x2 v[7:8], v2, v[11:14], s[2:3] offset:24 glc
	s_waitcnt vmcnt(0)
	v_cmp_eq_u64_e32 vcc, v[7:8], v[13:14]
	v_mov_b32_e32 v14, v8
	s_or_b64 s[14:15], vcc, s[14:15]
	v_mov_b32_e32 v13, v7
	s_andn2_b64 exec, exec, s[14:15]
	s_cbranch_execnz .LBB3_257
.LBB3_258:                              ;   in Loop: Header=BB3_5 Depth=1
	s_or_b64 exec, exec, s[16:17]
.LBB3_259:                              ;   in Loop: Header=BB3_5 Depth=1
	v_readfirstlane_b32 s0, v36
	v_mov_b32_e32 v3, 0
	v_mov_b32_e32 v4, 0
	v_cmp_eq_u32_e64 s[0:1], s0, v36
	s_and_saveexec_b64 s[14:15], s[0:1]
	s_cbranch_execz .LBB3_265
; %bb.260:                              ;   in Loop: Header=BB3_5 Depth=1
	global_load_dwordx2 v[13:14], v2, s[2:3] offset:24 glc
	s_waitcnt vmcnt(0)
	buffer_wbinvl1_vol
	global_load_dwordx2 v[3:4], v2, s[2:3] offset:40
	global_load_dwordx2 v[7:8], v2, s[2:3]
	s_waitcnt vmcnt(1)
	v_and_b32_e32 v1, v3, v13
	v_and_b32_e32 v3, v4, v14
	v_mul_lo_u32 v3, v3, 24
	v_mul_hi_u32 v4, v1, 24
	v_mul_lo_u32 v1, v1, 24
	v_add_u32_e32 v4, v4, v3
	s_waitcnt vmcnt(0)
	v_add_co_u32_e32 v3, vcc, v7, v1
	v_addc_co_u32_e32 v4, vcc, v8, v4, vcc
	global_load_dwordx2 v[11:12], v[3:4], off glc
	s_waitcnt vmcnt(0)
	global_atomic_cmpswap_x2 v[3:4], v2, v[11:14], s[2:3] offset:24 glc
	s_waitcnt vmcnt(0)
	buffer_wbinvl1_vol
	v_cmp_ne_u64_e32 vcc, v[3:4], v[13:14]
	s_and_saveexec_b64 s[16:17], vcc
	s_cbranch_execz .LBB3_264
; %bb.261:                              ;   in Loop: Header=BB3_5 Depth=1
	s_mov_b64 s[18:19], 0
.LBB3_262:                              ;   Parent Loop BB3_5 Depth=1
                                        ; =>  This Inner Loop Header: Depth=2
	s_sleep 1
	global_load_dwordx2 v[7:8], v2, s[2:3] offset:40
	global_load_dwordx2 v[11:12], v2, s[2:3]
	v_mov_b32_e32 v14, v4
	v_mov_b32_e32 v13, v3
	s_waitcnt vmcnt(1)
	v_and_b32_e32 v1, v7, v13
	s_waitcnt vmcnt(0)
	v_mad_u64_u32 v[3:4], s[20:21], v1, 24, v[11:12]
	v_and_b32_e32 v7, v8, v14
	v_mov_b32_e32 v1, v4
	v_mad_u64_u32 v[7:8], s[20:21], v7, 24, v[1:2]
	v_mov_b32_e32 v4, v7
	global_load_dwordx2 v[11:12], v[3:4], off glc
	s_waitcnt vmcnt(0)
	global_atomic_cmpswap_x2 v[3:4], v2, v[11:14], s[2:3] offset:24 glc
	s_waitcnt vmcnt(0)
	buffer_wbinvl1_vol
	v_cmp_eq_u64_e32 vcc, v[3:4], v[13:14]
	s_or_b64 s[18:19], vcc, s[18:19]
	s_andn2_b64 exec, exec, s[18:19]
	s_cbranch_execnz .LBB3_262
; %bb.263:                              ;   in Loop: Header=BB3_5 Depth=1
	s_or_b64 exec, exec, s[18:19]
.LBB3_264:                              ;   in Loop: Header=BB3_5 Depth=1
	s_or_b64 exec, exec, s[16:17]
.LBB3_265:                              ;   in Loop: Header=BB3_5 Depth=1
	s_or_b64 exec, exec, s[14:15]
	global_load_dwordx2 v[7:8], v2, s[2:3] offset:40
	global_load_dwordx4 v[13:16], v2, s[2:3]
	v_readfirstlane_b32 s15, v4
	v_readfirstlane_b32 s14, v3
	s_mov_b64 s[16:17], exec
	s_waitcnt vmcnt(1)
	v_readfirstlane_b32 s18, v7
	v_readfirstlane_b32 s19, v8
	s_and_b64 s[18:19], s[18:19], s[14:15]
	s_mul_i32 s20, s19, 24
	s_mul_hi_u32 s21, s18, 24
	s_mul_i32 s22, s18, 24
	s_add_i32 s20, s21, s20
	v_mov_b32_e32 v1, s20
	s_waitcnt vmcnt(0)
	v_add_co_u32_e32 v17, vcc, s22, v13
	v_addc_co_u32_e32 v18, vcc, v14, v1, vcc
	s_and_saveexec_b64 s[20:21], s[0:1]
	s_cbranch_execz .LBB3_267
; %bb.266:                              ;   in Loop: Header=BB3_5 Depth=1
	v_mov_b32_e32 v3, s16
	v_mov_b32_e32 v4, s17
	global_store_dwordx4 v[17:18], v[3:6], off offset:8
.LBB3_267:                              ;   in Loop: Header=BB3_5 Depth=1
	s_or_b64 exec, exec, s[20:21]
	s_lshl_b64 s[16:17], s[18:19], 12
	v_mov_b32_e32 v1, s17
	v_add_co_u32_e32 v15, vcc, s16, v15
	v_addc_co_u32_e32 v16, vcc, v16, v1, vcc
	v_and_or_b32 v9, v9, s29, 32
	v_mov_b32_e32 v11, v29
	v_mov_b32_e32 v12, v30
	v_readfirstlane_b32 s16, v15
	v_readfirstlane_b32 s17, v16
	s_nop 4
	global_store_dwordx4 v38, v[9:12], s[16:17]
	v_mov_b32_e32 v7, s8
	v_mov_b32_e32 v8, s9
	;; [unrolled: 1-line block ×4, first 2 shown]
	global_store_dwordx4 v38, v[7:10], s[16:17] offset:16
	global_store_dwordx4 v38, v[7:10], s[16:17] offset:32
	;; [unrolled: 1-line block ×3, first 2 shown]
	s_and_saveexec_b64 s[16:17], s[0:1]
	s_cbranch_execz .LBB3_275
; %bb.268:                              ;   in Loop: Header=BB3_5 Depth=1
	global_load_dwordx2 v[11:12], v2, s[2:3] offset:32 glc
	global_load_dwordx2 v[3:4], v2, s[2:3] offset:40
	v_mov_b32_e32 v9, s14
	v_mov_b32_e32 v10, s15
	s_waitcnt vmcnt(0)
	v_readfirstlane_b32 s18, v3
	v_readfirstlane_b32 s19, v4
	s_and_b64 s[18:19], s[18:19], s[14:15]
	s_mul_i32 s19, s19, 24
	s_mul_hi_u32 s20, s18, 24
	s_mul_i32 s18, s18, 24
	s_add_i32 s19, s20, s19
	v_mov_b32_e32 v1, s19
	v_add_co_u32_e32 v3, vcc, s18, v13
	v_addc_co_u32_e32 v4, vcc, v14, v1, vcc
	global_store_dwordx2 v[3:4], v[11:12], off
	s_waitcnt vmcnt(0)
	global_atomic_cmpswap_x2 v[9:10], v2, v[9:12], s[2:3] offset:32 glc
	s_waitcnt vmcnt(0)
	v_cmp_ne_u64_e32 vcc, v[9:10], v[11:12]
	s_and_saveexec_b64 s[18:19], vcc
	s_cbranch_execz .LBB3_271
; %bb.269:                              ;   in Loop: Header=BB3_5 Depth=1
	s_mov_b64 s[20:21], 0
.LBB3_270:                              ;   Parent Loop BB3_5 Depth=1
                                        ; =>  This Inner Loop Header: Depth=2
	s_sleep 1
	global_store_dwordx2 v[3:4], v[9:10], off
	v_mov_b32_e32 v7, s14
	v_mov_b32_e32 v8, s15
	s_waitcnt vmcnt(0)
	global_atomic_cmpswap_x2 v[7:8], v2, v[7:10], s[2:3] offset:32 glc
	s_waitcnt vmcnt(0)
	v_cmp_eq_u64_e32 vcc, v[7:8], v[9:10]
	v_mov_b32_e32 v10, v8
	s_or_b64 s[20:21], vcc, s[20:21]
	v_mov_b32_e32 v9, v7
	s_andn2_b64 exec, exec, s[20:21]
	s_cbranch_execnz .LBB3_270
.LBB3_271:                              ;   in Loop: Header=BB3_5 Depth=1
	s_or_b64 exec, exec, s[18:19]
	global_load_dwordx2 v[3:4], v2, s[2:3] offset:16
	s_mov_b64 s[20:21], exec
	v_mbcnt_lo_u32_b32 v1, s20, 0
	v_mbcnt_hi_u32_b32 v1, s21, v1
	v_cmp_eq_u32_e32 vcc, 0, v1
	s_and_saveexec_b64 s[18:19], vcc
	s_cbranch_execz .LBB3_273
; %bb.272:                              ;   in Loop: Header=BB3_5 Depth=1
	s_bcnt1_i32_b64 s20, s[20:21]
	v_mov_b32_e32 v1, s20
	s_waitcnt vmcnt(0)
	global_atomic_add_x2 v[3:4], v[1:2], off offset:8
.LBB3_273:                              ;   in Loop: Header=BB3_5 Depth=1
	s_or_b64 exec, exec, s[18:19]
	s_waitcnt vmcnt(0)
	global_load_dwordx2 v[7:8], v[3:4], off offset:16
	s_waitcnt vmcnt(0)
	v_cmp_eq_u64_e32 vcc, 0, v[7:8]
	s_cbranch_vccnz .LBB3_275
; %bb.274:                              ;   in Loop: Header=BB3_5 Depth=1
	global_load_dword v1, v[3:4], off offset:24
	s_waitcnt vmcnt(0)
	v_readfirstlane_b32 s18, v1
	s_and_b32 m0, s18, 0xffffff
	global_store_dwordx2 v[7:8], v[1:2], off
	s_sendmsg sendmsg(MSG_INTERRUPT)
.LBB3_275:                              ;   in Loop: Header=BB3_5 Depth=1
	s_or_b64 exec, exec, s[16:17]
	v_add_co_u32_e32 v3, vcc, v15, v38
	v_addc_co_u32_e32 v4, vcc, 0, v16, vcc
	s_branch .LBB3_279
.LBB3_276:                              ;   in Loop: Header=BB3_279 Depth=2
	s_or_b64 exec, exec, s[16:17]
	v_readfirstlane_b32 s16, v1
	s_cmp_eq_u32 s16, 0
	s_cbranch_scc1 .LBB3_278
; %bb.277:                              ;   in Loop: Header=BB3_279 Depth=2
	s_sleep 1
	s_cbranch_execnz .LBB3_279
	s_branch .LBB3_281
.LBB3_278:                              ;   in Loop: Header=BB3_5 Depth=1
	s_branch .LBB3_281
.LBB3_279:                              ;   Parent Loop BB3_5 Depth=1
                                        ; =>  This Inner Loop Header: Depth=2
	v_mov_b32_e32 v1, 1
	s_and_saveexec_b64 s[16:17], s[0:1]
	s_cbranch_execz .LBB3_276
; %bb.280:                              ;   in Loop: Header=BB3_279 Depth=2
	global_load_dword v1, v[17:18], off offset:20 glc
	s_waitcnt vmcnt(0)
	buffer_wbinvl1_vol
	v_and_b32_e32 v1, 1, v1
	s_branch .LBB3_276
.LBB3_281:                              ;   in Loop: Header=BB3_5 Depth=1
	global_load_dwordx2 v[7:8], v[3:4], off
	s_and_saveexec_b64 s[16:17], s[0:1]
	s_cbranch_execz .LBB3_285
; %bb.282:                              ;   in Loop: Header=BB3_5 Depth=1
	global_load_dwordx2 v[3:4], v2, s[2:3] offset:40
	global_load_dwordx2 v[13:14], v2, s[2:3] offset:24 glc
	global_load_dwordx2 v[9:10], v2, s[2:3]
	s_waitcnt vmcnt(2)
	v_readfirstlane_b32 s18, v3
	v_readfirstlane_b32 s19, v4
	s_add_u32 s20, s18, 1
	s_addc_u32 s21, s19, 0
	s_add_u32 s0, s20, s14
	s_addc_u32 s1, s21, s15
	s_cmp_eq_u64 s[0:1], 0
	s_cselect_b32 s1, s21, s1
	s_cselect_b32 s0, s20, s0
	s_and_b64 s[14:15], s[0:1], s[18:19]
	s_mul_i32 s15, s15, 24
	s_mul_hi_u32 s18, s14, 24
	s_mul_i32 s14, s14, 24
	s_add_i32 s15, s18, s15
	v_mov_b32_e32 v1, s15
	s_waitcnt vmcnt(0)
	v_add_co_u32_e32 v3, vcc, s14, v9
	v_addc_co_u32_e32 v4, vcc, v10, v1, vcc
	v_mov_b32_e32 v11, s0
	global_store_dwordx2 v[3:4], v[13:14], off
	v_mov_b32_e32 v12, s1
	s_waitcnt vmcnt(0)
	global_atomic_cmpswap_x2 v[11:12], v2, v[11:14], s[2:3] offset:24 glc
	s_waitcnt vmcnt(0)
	v_cmp_ne_u64_e32 vcc, v[11:12], v[13:14]
	s_and_b64 exec, exec, vcc
	s_cbranch_execz .LBB3_285
; %bb.283:                              ;   in Loop: Header=BB3_5 Depth=1
	s_mov_b64 s[14:15], 0
.LBB3_284:                              ;   Parent Loop BB3_5 Depth=1
                                        ; =>  This Inner Loop Header: Depth=2
	s_sleep 1
	global_store_dwordx2 v[3:4], v[11:12], off
	v_mov_b32_e32 v9, s0
	v_mov_b32_e32 v10, s1
	s_waitcnt vmcnt(0)
	global_atomic_cmpswap_x2 v[9:10], v2, v[9:12], s[2:3] offset:24 glc
	s_waitcnt vmcnt(0)
	v_cmp_eq_u64_e32 vcc, v[9:10], v[11:12]
	v_mov_b32_e32 v12, v10
	s_or_b64 s[14:15], vcc, s[14:15]
	v_mov_b32_e32 v11, v9
	s_andn2_b64 exec, exec, s[14:15]
	s_cbranch_execnz .LBB3_284
.LBB3_285:                              ;   in Loop: Header=BB3_5 Depth=1
	s_or_b64 exec, exec, s[16:17]
	v_readfirstlane_b32 s0, v36
	v_mov_b32_e32 v3, 0
	v_mov_b32_e32 v4, 0
	v_cmp_eq_u32_e64 s[0:1], s0, v36
	s_and_saveexec_b64 s[14:15], s[0:1]
	s_cbranch_execz .LBB3_291
; %bb.286:                              ;   in Loop: Header=BB3_5 Depth=1
	global_load_dwordx2 v[11:12], v2, s[2:3] offset:24 glc
	s_waitcnt vmcnt(0)
	buffer_wbinvl1_vol
	global_load_dwordx2 v[3:4], v2, s[2:3] offset:40
	global_load_dwordx2 v[9:10], v2, s[2:3]
	s_waitcnt vmcnt(1)
	v_and_b32_e32 v1, v3, v11
	v_and_b32_e32 v3, v4, v12
	v_mul_lo_u32 v3, v3, 24
	v_mul_hi_u32 v4, v1, 24
	v_mul_lo_u32 v1, v1, 24
	v_add_u32_e32 v4, v4, v3
	s_waitcnt vmcnt(0)
	v_add_co_u32_e32 v3, vcc, v9, v1
	v_addc_co_u32_e32 v4, vcc, v10, v4, vcc
	global_load_dwordx2 v[9:10], v[3:4], off glc
	s_waitcnt vmcnt(0)
	global_atomic_cmpswap_x2 v[3:4], v2, v[9:12], s[2:3] offset:24 glc
	s_waitcnt vmcnt(0)
	buffer_wbinvl1_vol
	v_cmp_ne_u64_e32 vcc, v[3:4], v[11:12]
	s_and_saveexec_b64 s[16:17], vcc
	s_cbranch_execz .LBB3_290
; %bb.287:                              ;   in Loop: Header=BB3_5 Depth=1
	s_mov_b64 s[18:19], 0
.LBB3_288:                              ;   Parent Loop BB3_5 Depth=1
                                        ; =>  This Inner Loop Header: Depth=2
	s_sleep 1
	global_load_dwordx2 v[9:10], v2, s[2:3] offset:40
	global_load_dwordx2 v[13:14], v2, s[2:3]
	v_mov_b32_e32 v12, v4
	v_mov_b32_e32 v11, v3
	s_waitcnt vmcnt(1)
	v_and_b32_e32 v1, v9, v11
	s_waitcnt vmcnt(0)
	v_mad_u64_u32 v[3:4], s[20:21], v1, 24, v[13:14]
	v_and_b32_e32 v9, v10, v12
	v_mov_b32_e32 v1, v4
	v_mad_u64_u32 v[9:10], s[20:21], v9, 24, v[1:2]
	v_mov_b32_e32 v4, v9
	global_load_dwordx2 v[9:10], v[3:4], off glc
	s_waitcnt vmcnt(0)
	global_atomic_cmpswap_x2 v[3:4], v2, v[9:12], s[2:3] offset:24 glc
	s_waitcnt vmcnt(0)
	buffer_wbinvl1_vol
	v_cmp_eq_u64_e32 vcc, v[3:4], v[11:12]
	s_or_b64 s[18:19], vcc, s[18:19]
	s_andn2_b64 exec, exec, s[18:19]
	s_cbranch_execnz .LBB3_288
; %bb.289:                              ;   in Loop: Header=BB3_5 Depth=1
	s_or_b64 exec, exec, s[18:19]
.LBB3_290:                              ;   in Loop: Header=BB3_5 Depth=1
	s_or_b64 exec, exec, s[16:17]
.LBB3_291:                              ;   in Loop: Header=BB3_5 Depth=1
	s_or_b64 exec, exec, s[14:15]
	global_load_dwordx2 v[9:10], v2, s[2:3] offset:40
	global_load_dwordx4 v[11:14], v2, s[2:3]
	v_readfirstlane_b32 s15, v4
	v_readfirstlane_b32 s14, v3
	s_mov_b64 s[16:17], exec
	s_waitcnt vmcnt(1)
	v_readfirstlane_b32 s18, v9
	v_readfirstlane_b32 s19, v10
	s_and_b64 s[18:19], s[18:19], s[14:15]
	s_mul_i32 s20, s19, 24
	s_mul_hi_u32 s21, s18, 24
	s_mul_i32 s22, s18, 24
	s_add_i32 s20, s21, s20
	v_mov_b32_e32 v1, s20
	s_waitcnt vmcnt(0)
	v_add_co_u32_e32 v15, vcc, s22, v11
	v_addc_co_u32_e32 v16, vcc, v12, v1, vcc
	s_and_saveexec_b64 s[20:21], s[0:1]
	s_cbranch_execz .LBB3_293
; %bb.292:                              ;   in Loop: Header=BB3_5 Depth=1
	v_mov_b32_e32 v3, s16
	v_mov_b32_e32 v4, s17
	global_store_dwordx4 v[15:16], v[3:6], off offset:8
.LBB3_293:                              ;   in Loop: Header=BB3_5 Depth=1
	s_or_b64 exec, exec, s[20:21]
	s_lshl_b64 s[16:17], s[18:19], 12
	v_mov_b32_e32 v1, s17
	v_add_co_u32_e32 v13, vcc, s16, v13
	v_addc_co_u32_e32 v14, vcc, v14, v1, vcc
	v_and_or_b32 v7, v7, s30, 34
	v_mov_b32_e32 v9, s31
	v_mov_b32_e32 v10, v2
	v_readfirstlane_b32 s16, v13
	v_readfirstlane_b32 s17, v14
	s_nop 4
	global_store_dwordx4 v38, v[7:10], s[16:17]
	s_nop 0
	v_mov_b32_e32 v7, s8
	v_mov_b32_e32 v8, s9
	;; [unrolled: 1-line block ×4, first 2 shown]
	global_store_dwordx4 v38, v[7:10], s[16:17] offset:16
	global_store_dwordx4 v38, v[7:10], s[16:17] offset:32
	;; [unrolled: 1-line block ×3, first 2 shown]
	s_and_saveexec_b64 s[16:17], s[0:1]
	s_cbranch_execz .LBB3_301
; %bb.294:                              ;   in Loop: Header=BB3_5 Depth=1
	global_load_dwordx2 v[19:20], v2, s[2:3] offset:32 glc
	global_load_dwordx2 v[3:4], v2, s[2:3] offset:40
	v_mov_b32_e32 v17, s14
	v_mov_b32_e32 v18, s15
	s_waitcnt vmcnt(0)
	v_readfirstlane_b32 s18, v3
	v_readfirstlane_b32 s19, v4
	s_and_b64 s[18:19], s[18:19], s[14:15]
	s_mul_i32 s19, s19, 24
	s_mul_hi_u32 s20, s18, 24
	s_mul_i32 s18, s18, 24
	s_add_i32 s19, s20, s19
	v_mov_b32_e32 v1, s19
	v_add_co_u32_e32 v3, vcc, s18, v11
	v_addc_co_u32_e32 v4, vcc, v12, v1, vcc
	global_store_dwordx2 v[3:4], v[19:20], off
	s_waitcnt vmcnt(0)
	global_atomic_cmpswap_x2 v[9:10], v2, v[17:20], s[2:3] offset:32 glc
	s_waitcnt vmcnt(0)
	v_cmp_ne_u64_e32 vcc, v[9:10], v[19:20]
	s_and_saveexec_b64 s[18:19], vcc
	s_cbranch_execz .LBB3_297
; %bb.295:                              ;   in Loop: Header=BB3_5 Depth=1
	s_mov_b64 s[20:21], 0
.LBB3_296:                              ;   Parent Loop BB3_5 Depth=1
                                        ; =>  This Inner Loop Header: Depth=2
	s_sleep 1
	global_store_dwordx2 v[3:4], v[9:10], off
	v_mov_b32_e32 v7, s14
	v_mov_b32_e32 v8, s15
	s_waitcnt vmcnt(0)
	global_atomic_cmpswap_x2 v[7:8], v2, v[7:10], s[2:3] offset:32 glc
	s_waitcnt vmcnt(0)
	v_cmp_eq_u64_e32 vcc, v[7:8], v[9:10]
	v_mov_b32_e32 v10, v8
	s_or_b64 s[20:21], vcc, s[20:21]
	v_mov_b32_e32 v9, v7
	s_andn2_b64 exec, exec, s[20:21]
	s_cbranch_execnz .LBB3_296
.LBB3_297:                              ;   in Loop: Header=BB3_5 Depth=1
	s_or_b64 exec, exec, s[18:19]
	global_load_dwordx2 v[3:4], v2, s[2:3] offset:16
	s_mov_b64 s[20:21], exec
	v_mbcnt_lo_u32_b32 v1, s20, 0
	v_mbcnt_hi_u32_b32 v1, s21, v1
	v_cmp_eq_u32_e32 vcc, 0, v1
	s_and_saveexec_b64 s[18:19], vcc
	s_cbranch_execz .LBB3_299
; %bb.298:                              ;   in Loop: Header=BB3_5 Depth=1
	s_bcnt1_i32_b64 s20, s[20:21]
	v_mov_b32_e32 v1, s20
	s_waitcnt vmcnt(0)
	global_atomic_add_x2 v[3:4], v[1:2], off offset:8
.LBB3_299:                              ;   in Loop: Header=BB3_5 Depth=1
	s_or_b64 exec, exec, s[18:19]
	s_waitcnt vmcnt(0)
	global_load_dwordx2 v[7:8], v[3:4], off offset:16
	s_waitcnt vmcnt(0)
	v_cmp_eq_u64_e32 vcc, 0, v[7:8]
	s_cbranch_vccnz .LBB3_301
; %bb.300:                              ;   in Loop: Header=BB3_5 Depth=1
	global_load_dword v1, v[3:4], off offset:24
	s_waitcnt vmcnt(0)
	v_readfirstlane_b32 s18, v1
	s_and_b32 m0, s18, 0xffffff
	global_store_dwordx2 v[7:8], v[1:2], off
	s_sendmsg sendmsg(MSG_INTERRUPT)
.LBB3_301:                              ;   in Loop: Header=BB3_5 Depth=1
	s_or_b64 exec, exec, s[16:17]
	v_add_co_u32_e32 v3, vcc, v13, v38
	v_addc_co_u32_e32 v4, vcc, 0, v14, vcc
	s_branch .LBB3_305
.LBB3_302:                              ;   in Loop: Header=BB3_305 Depth=2
	s_or_b64 exec, exec, s[16:17]
	v_readfirstlane_b32 s16, v1
	s_cmp_eq_u32 s16, 0
	s_cbranch_scc1 .LBB3_304
; %bb.303:                              ;   in Loop: Header=BB3_305 Depth=2
	s_sleep 1
	s_cbranch_execnz .LBB3_305
	s_branch .LBB3_307
.LBB3_304:                              ;   in Loop: Header=BB3_5 Depth=1
	s_branch .LBB3_307
.LBB3_305:                              ;   Parent Loop BB3_5 Depth=1
                                        ; =>  This Inner Loop Header: Depth=2
	v_mov_b32_e32 v1, 1
	s_and_saveexec_b64 s[16:17], s[0:1]
	s_cbranch_execz .LBB3_302
; %bb.306:                              ;   in Loop: Header=BB3_305 Depth=2
	global_load_dword v1, v[15:16], off offset:20 glc
	s_waitcnt vmcnt(0)
	buffer_wbinvl1_vol
	v_and_b32_e32 v1, 1, v1
	s_branch .LBB3_302
.LBB3_307:                              ;   in Loop: Header=BB3_5 Depth=1
	global_load_dwordx2 v[31:32], v[3:4], off
	s_and_saveexec_b64 s[16:17], s[0:1]
	s_cbranch_execz .LBB3_311
; %bb.308:                              ;   in Loop: Header=BB3_5 Depth=1
	global_load_dwordx2 v[3:4], v2, s[2:3] offset:40
	global_load_dwordx2 v[11:12], v2, s[2:3] offset:24 glc
	global_load_dwordx2 v[7:8], v2, s[2:3]
	s_waitcnt vmcnt(2)
	v_readfirstlane_b32 s18, v3
	v_readfirstlane_b32 s19, v4
	s_add_u32 s20, s18, 1
	s_addc_u32 s21, s19, 0
	s_add_u32 s0, s20, s14
	s_addc_u32 s1, s21, s15
	s_cmp_eq_u64 s[0:1], 0
	s_cselect_b32 s1, s21, s1
	s_cselect_b32 s0, s20, s0
	s_and_b64 s[14:15], s[0:1], s[18:19]
	s_mul_i32 s15, s15, 24
	s_mul_hi_u32 s18, s14, 24
	s_mul_i32 s14, s14, 24
	s_add_i32 s15, s18, s15
	v_mov_b32_e32 v1, s15
	s_waitcnt vmcnt(0)
	v_add_co_u32_e32 v3, vcc, s14, v7
	v_addc_co_u32_e32 v4, vcc, v8, v1, vcc
	v_mov_b32_e32 v9, s0
	global_store_dwordx2 v[3:4], v[11:12], off
	v_mov_b32_e32 v10, s1
	s_waitcnt vmcnt(0)
	global_atomic_cmpswap_x2 v[9:10], v2, v[9:12], s[2:3] offset:24 glc
	s_waitcnt vmcnt(0)
	v_cmp_ne_u64_e32 vcc, v[9:10], v[11:12]
	s_and_b64 exec, exec, vcc
	s_cbranch_execz .LBB3_311
; %bb.309:                              ;   in Loop: Header=BB3_5 Depth=1
	s_mov_b64 s[14:15], 0
.LBB3_310:                              ;   Parent Loop BB3_5 Depth=1
                                        ; =>  This Inner Loop Header: Depth=2
	s_sleep 1
	global_store_dwordx2 v[3:4], v[9:10], off
	v_mov_b32_e32 v7, s0
	v_mov_b32_e32 v8, s1
	s_waitcnt vmcnt(0)
	global_atomic_cmpswap_x2 v[7:8], v2, v[7:10], s[2:3] offset:24 glc
	s_waitcnt vmcnt(0)
	v_cmp_eq_u64_e32 vcc, v[7:8], v[9:10]
	v_mov_b32_e32 v10, v8
	s_or_b64 s[14:15], vcc, s[14:15]
	v_mov_b32_e32 v9, v7
	s_andn2_b64 exec, exec, s[14:15]
	s_cbranch_execnz .LBB3_310
.LBB3_311:                              ;   in Loop: Header=BB3_5 Depth=1
	s_or_b64 exec, exec, s[16:17]
	v_readfirstlane_b32 s0, v36
	v_mov_b32_e32 v3, 0
	v_mov_b32_e32 v4, 0
	v_cmp_eq_u32_e64 s[0:1], s0, v36
	s_and_saveexec_b64 s[14:15], s[0:1]
	s_cbranch_execz .LBB3_317
; %bb.312:                              ;   in Loop: Header=BB3_5 Depth=1
	global_load_dwordx2 v[9:10], v2, s[2:3] offset:24 glc
	s_waitcnt vmcnt(0)
	buffer_wbinvl1_vol
	global_load_dwordx2 v[3:4], v2, s[2:3] offset:40
	global_load_dwordx2 v[7:8], v2, s[2:3]
	s_waitcnt vmcnt(1)
	v_and_b32_e32 v1, v3, v9
	v_and_b32_e32 v3, v4, v10
	v_mul_lo_u32 v3, v3, 24
	v_mul_hi_u32 v4, v1, 24
	v_mul_lo_u32 v1, v1, 24
	v_add_u32_e32 v4, v4, v3
	s_waitcnt vmcnt(0)
	v_add_co_u32_e32 v3, vcc, v7, v1
	v_addc_co_u32_e32 v4, vcc, v8, v4, vcc
	global_load_dwordx2 v[7:8], v[3:4], off glc
	s_waitcnt vmcnt(0)
	global_atomic_cmpswap_x2 v[3:4], v2, v[7:10], s[2:3] offset:24 glc
	s_waitcnt vmcnt(0)
	buffer_wbinvl1_vol
	v_cmp_ne_u64_e32 vcc, v[3:4], v[9:10]
	s_and_saveexec_b64 s[16:17], vcc
	s_cbranch_execz .LBB3_316
; %bb.313:                              ;   in Loop: Header=BB3_5 Depth=1
	s_mov_b64 s[18:19], 0
.LBB3_314:                              ;   Parent Loop BB3_5 Depth=1
                                        ; =>  This Inner Loop Header: Depth=2
	s_sleep 1
	global_load_dwordx2 v[7:8], v2, s[2:3] offset:40
	global_load_dwordx2 v[11:12], v2, s[2:3]
	v_mov_b32_e32 v10, v4
	v_mov_b32_e32 v9, v3
	s_waitcnt vmcnt(1)
	v_and_b32_e32 v1, v7, v9
	s_waitcnt vmcnt(0)
	v_mad_u64_u32 v[3:4], s[20:21], v1, 24, v[11:12]
	v_and_b32_e32 v7, v8, v10
	v_mov_b32_e32 v1, v4
	v_mad_u64_u32 v[7:8], s[20:21], v7, 24, v[1:2]
	v_mov_b32_e32 v4, v7
	global_load_dwordx2 v[7:8], v[3:4], off glc
	s_waitcnt vmcnt(0)
	global_atomic_cmpswap_x2 v[3:4], v2, v[7:10], s[2:3] offset:24 glc
	s_waitcnt vmcnt(0)
	buffer_wbinvl1_vol
	v_cmp_eq_u64_e32 vcc, v[3:4], v[9:10]
	s_or_b64 s[18:19], vcc, s[18:19]
	s_andn2_b64 exec, exec, s[18:19]
	s_cbranch_execnz .LBB3_314
; %bb.315:                              ;   in Loop: Header=BB3_5 Depth=1
	s_or_b64 exec, exec, s[18:19]
.LBB3_316:                              ;   in Loop: Header=BB3_5 Depth=1
	s_or_b64 exec, exec, s[16:17]
.LBB3_317:                              ;   in Loop: Header=BB3_5 Depth=1
	s_or_b64 exec, exec, s[14:15]
	global_load_dwordx2 v[11:12], v2, s[2:3] offset:40
	global_load_dwordx4 v[7:10], v2, s[2:3]
	v_readfirstlane_b32 s15, v4
	v_readfirstlane_b32 s14, v3
	s_mov_b64 s[16:17], exec
	s_waitcnt vmcnt(1)
	v_readfirstlane_b32 s18, v11
	v_readfirstlane_b32 s19, v12
	s_and_b64 s[18:19], s[18:19], s[14:15]
	s_mul_i32 s20, s19, 24
	s_mul_hi_u32 s21, s18, 24
	s_mul_i32 s22, s18, 24
	s_add_i32 s20, s21, s20
	v_mov_b32_e32 v1, s20
	s_waitcnt vmcnt(0)
	v_add_co_u32_e32 v11, vcc, s22, v7
	v_addc_co_u32_e32 v12, vcc, v8, v1, vcc
	s_and_saveexec_b64 s[20:21], s[0:1]
	s_cbranch_execz .LBB3_319
; %bb.318:                              ;   in Loop: Header=BB3_5 Depth=1
	v_mov_b32_e32 v3, s16
	v_mov_b32_e32 v4, s17
	global_store_dwordx4 v[11:12], v[3:6], off offset:8
.LBB3_319:                              ;   in Loop: Header=BB3_5 Depth=1
	s_or_b64 exec, exec, s[20:21]
	s_lshl_b64 s[16:17], s[18:19], 12
	v_mov_b32_e32 v1, s17
	v_add_co_u32_e32 v13, vcc, s16, v9
	v_addc_co_u32_e32 v14, vcc, v10, v1, vcc
	v_mov_b32_e32 v18, s11
	v_mov_b32_e32 v1, v2
	;; [unrolled: 1-line block ×3, first 2 shown]
	v_readfirstlane_b32 s16, v13
	v_readfirstlane_b32 s17, v14
	v_mov_b32_e32 v17, s10
	v_mov_b32_e32 v16, s9
	;; [unrolled: 1-line block ×3, first 2 shown]
	s_nop 1
	global_store_dwordx4 v38, v[0:3], s[16:17]
	global_store_dwordx4 v38, v[15:18], s[16:17] offset:16
	global_store_dwordx4 v38, v[15:18], s[16:17] offset:32
	;; [unrolled: 1-line block ×3, first 2 shown]
	s_and_saveexec_b64 s[16:17], s[0:1]
	s_cbranch_execz .LBB3_327
; %bb.320:                              ;   in Loop: Header=BB3_5 Depth=1
	global_load_dwordx2 v[17:18], v2, s[2:3] offset:32 glc
	global_load_dwordx2 v[3:4], v2, s[2:3] offset:40
	v_mov_b32_e32 v15, s14
	v_mov_b32_e32 v16, s15
	s_waitcnt vmcnt(0)
	v_readfirstlane_b32 s18, v3
	v_readfirstlane_b32 s19, v4
	s_and_b64 s[18:19], s[18:19], s[14:15]
	s_mul_i32 s19, s19, 24
	s_mul_hi_u32 s20, s18, 24
	s_mul_i32 s18, s18, 24
	s_add_i32 s19, s20, s19
	v_mov_b32_e32 v1, s19
	v_add_co_u32_e32 v3, vcc, s18, v7
	v_addc_co_u32_e32 v4, vcc, v8, v1, vcc
	global_store_dwordx2 v[3:4], v[17:18], off
	s_waitcnt vmcnt(0)
	global_atomic_cmpswap_x2 v[9:10], v2, v[15:18], s[2:3] offset:32 glc
	s_waitcnt vmcnt(0)
	v_cmp_ne_u64_e32 vcc, v[9:10], v[17:18]
	s_and_saveexec_b64 s[18:19], vcc
	s_cbranch_execz .LBB3_323
; %bb.321:                              ;   in Loop: Header=BB3_5 Depth=1
	s_mov_b64 s[20:21], 0
.LBB3_322:                              ;   Parent Loop BB3_5 Depth=1
                                        ; =>  This Inner Loop Header: Depth=2
	s_sleep 1
	global_store_dwordx2 v[3:4], v[9:10], off
	v_mov_b32_e32 v7, s14
	v_mov_b32_e32 v8, s15
	s_waitcnt vmcnt(0)
	global_atomic_cmpswap_x2 v[7:8], v2, v[7:10], s[2:3] offset:32 glc
	s_waitcnt vmcnt(0)
	v_cmp_eq_u64_e32 vcc, v[7:8], v[9:10]
	v_mov_b32_e32 v10, v8
	s_or_b64 s[20:21], vcc, s[20:21]
	v_mov_b32_e32 v9, v7
	s_andn2_b64 exec, exec, s[20:21]
	s_cbranch_execnz .LBB3_322
.LBB3_323:                              ;   in Loop: Header=BB3_5 Depth=1
	s_or_b64 exec, exec, s[18:19]
	global_load_dwordx2 v[3:4], v2, s[2:3] offset:16
	s_mov_b64 s[20:21], exec
	v_mbcnt_lo_u32_b32 v1, s20, 0
	v_mbcnt_hi_u32_b32 v1, s21, v1
	v_cmp_eq_u32_e32 vcc, 0, v1
	s_and_saveexec_b64 s[18:19], vcc
	s_cbranch_execz .LBB3_325
; %bb.324:                              ;   in Loop: Header=BB3_5 Depth=1
	s_bcnt1_i32_b64 s20, s[20:21]
	v_mov_b32_e32 v1, s20
	s_waitcnt vmcnt(0)
	global_atomic_add_x2 v[3:4], v[1:2], off offset:8
.LBB3_325:                              ;   in Loop: Header=BB3_5 Depth=1
	s_or_b64 exec, exec, s[18:19]
	s_waitcnt vmcnt(0)
	global_load_dwordx2 v[7:8], v[3:4], off offset:16
	s_waitcnt vmcnt(0)
	v_cmp_eq_u64_e32 vcc, 0, v[7:8]
	s_cbranch_vccnz .LBB3_327
; %bb.326:                              ;   in Loop: Header=BB3_5 Depth=1
	global_load_dword v1, v[3:4], off offset:24
	s_waitcnt vmcnt(0)
	v_readfirstlane_b32 s18, v1
	s_and_b32 m0, s18, 0xffffff
	global_store_dwordx2 v[7:8], v[1:2], off
	s_sendmsg sendmsg(MSG_INTERRUPT)
.LBB3_327:                              ;   in Loop: Header=BB3_5 Depth=1
	s_or_b64 exec, exec, s[16:17]
	v_add_co_u32_e32 v3, vcc, v13, v38
	v_addc_co_u32_e32 v4, vcc, 0, v14, vcc
	s_branch .LBB3_331
.LBB3_328:                              ;   in Loop: Header=BB3_331 Depth=2
	s_or_b64 exec, exec, s[16:17]
	v_readfirstlane_b32 s16, v1
	s_cmp_eq_u32 s16, 0
	s_cbranch_scc1 .LBB3_330
; %bb.329:                              ;   in Loop: Header=BB3_331 Depth=2
	s_sleep 1
	s_cbranch_execnz .LBB3_331
	s_branch .LBB3_333
.LBB3_330:                              ;   in Loop: Header=BB3_5 Depth=1
	s_branch .LBB3_333
.LBB3_331:                              ;   Parent Loop BB3_5 Depth=1
                                        ; =>  This Inner Loop Header: Depth=2
	v_mov_b32_e32 v1, 1
	s_and_saveexec_b64 s[16:17], s[0:1]
	s_cbranch_execz .LBB3_328
; %bb.332:                              ;   in Loop: Header=BB3_331 Depth=2
	global_load_dword v1, v[11:12], off offset:20 glc
	s_waitcnt vmcnt(0)
	buffer_wbinvl1_vol
	v_and_b32_e32 v1, 1, v1
	s_branch .LBB3_328
.LBB3_333:                              ;   in Loop: Header=BB3_5 Depth=1
	global_load_dwordx2 v[11:12], v[3:4], off
	s_and_saveexec_b64 s[16:17], s[0:1]
	s_cbranch_execz .LBB3_337
; %bb.334:                              ;   in Loop: Header=BB3_5 Depth=1
	global_load_dwordx2 v[3:4], v2, s[2:3] offset:40
	global_load_dwordx2 v[15:16], v2, s[2:3] offset:24 glc
	global_load_dwordx2 v[7:8], v2, s[2:3]
	s_waitcnt vmcnt(2)
	v_readfirstlane_b32 s18, v3
	v_readfirstlane_b32 s19, v4
	s_add_u32 s20, s18, 1
	s_addc_u32 s21, s19, 0
	s_add_u32 s0, s20, s14
	s_addc_u32 s1, s21, s15
	s_cmp_eq_u64 s[0:1], 0
	s_cselect_b32 s1, s21, s1
	s_cselect_b32 s0, s20, s0
	s_and_b64 s[14:15], s[0:1], s[18:19]
	s_mul_i32 s15, s15, 24
	s_mul_hi_u32 s18, s14, 24
	s_mul_i32 s14, s14, 24
	s_add_i32 s15, s18, s15
	v_mov_b32_e32 v1, s15
	s_waitcnt vmcnt(0)
	v_add_co_u32_e32 v3, vcc, s14, v7
	v_addc_co_u32_e32 v4, vcc, v8, v1, vcc
	v_mov_b32_e32 v13, s0
	global_store_dwordx2 v[3:4], v[15:16], off
	v_mov_b32_e32 v14, s1
	s_waitcnt vmcnt(0)
	global_atomic_cmpswap_x2 v[9:10], v2, v[13:16], s[2:3] offset:24 glc
	s_waitcnt vmcnt(0)
	v_cmp_ne_u64_e32 vcc, v[9:10], v[15:16]
	s_and_b64 exec, exec, vcc
	s_cbranch_execz .LBB3_337
; %bb.335:                              ;   in Loop: Header=BB3_5 Depth=1
	s_mov_b64 s[14:15], 0
.LBB3_336:                              ;   Parent Loop BB3_5 Depth=1
                                        ; =>  This Inner Loop Header: Depth=2
	s_sleep 1
	global_store_dwordx2 v[3:4], v[9:10], off
	v_mov_b32_e32 v7, s0
	v_mov_b32_e32 v8, s1
	s_waitcnt vmcnt(0)
	global_atomic_cmpswap_x2 v[7:8], v2, v[7:10], s[2:3] offset:24 glc
	s_waitcnt vmcnt(0)
	v_cmp_eq_u64_e32 vcc, v[7:8], v[9:10]
	v_mov_b32_e32 v10, v8
	s_or_b64 s[14:15], vcc, s[14:15]
	v_mov_b32_e32 v9, v7
	s_andn2_b64 exec, exec, s[14:15]
	s_cbranch_execnz .LBB3_336
.LBB3_337:                              ;   in Loop: Header=BB3_5 Depth=1
	s_or_b64 exec, exec, s[16:17]
	s_and_b64 vcc, exec, s[6:7]
	s_cbranch_vccz .LBB3_509
; %bb.338:                              ;   in Loop: Header=BB3_5 Depth=1
	s_waitcnt vmcnt(0)
	v_and_b32_e32 v34, 2, v11
	v_and_b32_e32 v7, -3, v11
	v_mov_b32_e32 v8, v12
	s_mov_b64 s[16:17], 9
	s_getpc_b64 s[14:15]
	s_add_u32 s14, s14, .str.5@rel32@lo+4
	s_addc_u32 s15, s15, .str.5@rel32@hi+12
	s_branch .LBB3_340
.LBB3_339:                              ;   in Loop: Header=BB3_340 Depth=2
	s_or_b64 exec, exec, s[22:23]
	s_sub_u32 s16, s16, s18
	s_subb_u32 s17, s17, s19
	s_add_u32 s14, s14, s18
	s_addc_u32 s15, s15, s19
	s_cmp_lg_u64 s[16:17], 0
	s_cbranch_scc0 .LBB3_422
.LBB3_340:                              ;   Parent Loop BB3_5 Depth=1
                                        ; =>  This Loop Header: Depth=2
                                        ;       Child Loop BB3_343 Depth 3
                                        ;       Child Loop BB3_351 Depth 3
	;; [unrolled: 1-line block ×11, first 2 shown]
	v_cmp_lt_u64_e64 s[0:1], s[16:17], 56
	v_cmp_gt_u64_e64 s[20:21], s[16:17], 7
	s_and_b64 s[0:1], s[0:1], exec
	s_cselect_b32 s19, s17, 0
	s_cselect_b32 s18, s16, 56
	s_add_u32 s0, s14, 8
	s_addc_u32 s1, s15, 0
	s_and_b64 vcc, exec, s[20:21]
	s_cbranch_vccnz .LBB3_344
; %bb.341:                              ;   in Loop: Header=BB3_340 Depth=2
	s_cmp_eq_u64 s[16:17], 0
	s_cbranch_scc1 .LBB3_345
; %bb.342:                              ;   in Loop: Header=BB3_340 Depth=2
	v_mov_b32_e32 v9, 0
	s_lshl_b64 s[0:1], s[18:19], 3
	s_mov_b64 s[20:21], 0
	v_mov_b32_e32 v10, 0
	s_mov_b64 s[22:23], s[14:15]
.LBB3_343:                              ;   Parent Loop BB3_5 Depth=1
                                        ;     Parent Loop BB3_340 Depth=2
                                        ; =>    This Inner Loop Header: Depth=3
	global_load_ubyte v1, v2, s[22:23]
	s_waitcnt vmcnt(0)
	v_and_b32_e32 v1, 0xffff, v1
	v_lshlrev_b64 v[3:4], s20, v[1:2]
	s_add_u32 s20, s20, 8
	s_addc_u32 s21, s21, 0
	s_add_u32 s22, s22, 1
	s_addc_u32 s23, s23, 0
	v_or_b32_e32 v9, v3, v9
	s_cmp_lg_u32 s0, s20
	v_or_b32_e32 v10, v4, v10
	s_cbranch_scc1 .LBB3_343
	s_branch .LBB3_346
.LBB3_344:                              ;   in Loop: Header=BB3_340 Depth=2
	s_mov_b32 s24, 0
	s_branch .LBB3_347
.LBB3_345:                              ;   in Loop: Header=BB3_340 Depth=2
	v_mov_b32_e32 v9, 0
	v_mov_b32_e32 v10, 0
.LBB3_346:                              ;   in Loop: Header=BB3_340 Depth=2
	s_mov_b64 s[0:1], s[14:15]
	s_mov_b32 s24, 0
	s_cbranch_execnz .LBB3_348
.LBB3_347:                              ;   in Loop: Header=BB3_340 Depth=2
	global_load_dwordx2 v[9:10], v2, s[14:15]
	s_add_i32 s24, s18, -8
.LBB3_348:                              ;   in Loop: Header=BB3_340 Depth=2
	s_add_u32 s20, s0, 8
	s_addc_u32 s21, s1, 0
	s_cmp_gt_u32 s24, 7
	s_cbranch_scc1 .LBB3_352
; %bb.349:                              ;   in Loop: Header=BB3_340 Depth=2
	s_cmp_eq_u32 s24, 0
	s_cbranch_scc1 .LBB3_353
; %bb.350:                              ;   in Loop: Header=BB3_340 Depth=2
	v_mov_b32_e32 v13, 0
	s_mov_b64 s[20:21], 0
	v_mov_b32_e32 v14, 0
	s_mov_b64 s[22:23], 0
.LBB3_351:                              ;   Parent Loop BB3_5 Depth=1
                                        ;     Parent Loop BB3_340 Depth=2
                                        ; =>    This Inner Loop Header: Depth=3
	s_add_u32 s26, s0, s22
	s_addc_u32 s27, s1, s23
	global_load_ubyte v1, v2, s[26:27]
	s_add_u32 s22, s22, 1
	s_addc_u32 s23, s23, 0
	s_waitcnt vmcnt(0)
	v_and_b32_e32 v1, 0xffff, v1
	v_lshlrev_b64 v[3:4], s20, v[1:2]
	s_add_u32 s20, s20, 8
	s_addc_u32 s21, s21, 0
	v_or_b32_e32 v13, v3, v13
	s_cmp_lg_u32 s24, s22
	v_or_b32_e32 v14, v4, v14
	s_cbranch_scc1 .LBB3_351
	s_branch .LBB3_354
.LBB3_352:                              ;   in Loop: Header=BB3_340 Depth=2
                                        ; implicit-def: $vgpr13_vgpr14
	s_mov_b32 s25, 0
	s_branch .LBB3_355
.LBB3_353:                              ;   in Loop: Header=BB3_340 Depth=2
	v_mov_b32_e32 v13, 0
	v_mov_b32_e32 v14, 0
.LBB3_354:                              ;   in Loop: Header=BB3_340 Depth=2
	s_mov_b64 s[20:21], s[0:1]
	s_mov_b32 s25, 0
	s_cbranch_execnz .LBB3_356
.LBB3_355:                              ;   in Loop: Header=BB3_340 Depth=2
	global_load_dwordx2 v[13:14], v2, s[0:1]
	s_add_i32 s25, s24, -8
.LBB3_356:                              ;   in Loop: Header=BB3_340 Depth=2
	s_add_u32 s0, s20, 8
	s_addc_u32 s1, s21, 0
	s_cmp_gt_u32 s25, 7
	s_cbranch_scc1 .LBB3_360
; %bb.357:                              ;   in Loop: Header=BB3_340 Depth=2
	s_cmp_eq_u32 s25, 0
	s_cbranch_scc1 .LBB3_361
; %bb.358:                              ;   in Loop: Header=BB3_340 Depth=2
	v_mov_b32_e32 v15, 0
	s_mov_b64 s[0:1], 0
	v_mov_b32_e32 v16, 0
	s_mov_b64 s[22:23], 0
.LBB3_359:                              ;   Parent Loop BB3_5 Depth=1
                                        ;     Parent Loop BB3_340 Depth=2
                                        ; =>    This Inner Loop Header: Depth=3
	s_add_u32 s26, s20, s22
	s_addc_u32 s27, s21, s23
	global_load_ubyte v1, v2, s[26:27]
	s_add_u32 s22, s22, 1
	s_addc_u32 s23, s23, 0
	s_waitcnt vmcnt(0)
	v_and_b32_e32 v1, 0xffff, v1
	v_lshlrev_b64 v[3:4], s0, v[1:2]
	s_add_u32 s0, s0, 8
	s_addc_u32 s1, s1, 0
	v_or_b32_e32 v15, v3, v15
	s_cmp_lg_u32 s25, s22
	v_or_b32_e32 v16, v4, v16
	s_cbranch_scc1 .LBB3_359
	s_branch .LBB3_362
.LBB3_360:                              ;   in Loop: Header=BB3_340 Depth=2
	s_mov_b32 s24, 0
	s_branch .LBB3_363
.LBB3_361:                              ;   in Loop: Header=BB3_340 Depth=2
	v_mov_b32_e32 v15, 0
	v_mov_b32_e32 v16, 0
.LBB3_362:                              ;   in Loop: Header=BB3_340 Depth=2
	s_mov_b64 s[0:1], s[20:21]
	s_mov_b32 s24, 0
	s_cbranch_execnz .LBB3_364
.LBB3_363:                              ;   in Loop: Header=BB3_340 Depth=2
	global_load_dwordx2 v[15:16], v2, s[20:21]
	s_add_i32 s24, s25, -8
.LBB3_364:                              ;   in Loop: Header=BB3_340 Depth=2
	s_add_u32 s20, s0, 8
	s_addc_u32 s21, s1, 0
	s_cmp_gt_u32 s24, 7
	s_cbranch_scc1 .LBB3_368
; %bb.365:                              ;   in Loop: Header=BB3_340 Depth=2
	s_cmp_eq_u32 s24, 0
	s_cbranch_scc1 .LBB3_369
; %bb.366:                              ;   in Loop: Header=BB3_340 Depth=2
	v_mov_b32_e32 v17, 0
	s_mov_b64 s[20:21], 0
	v_mov_b32_e32 v18, 0
	s_mov_b64 s[22:23], 0
.LBB3_367:                              ;   Parent Loop BB3_5 Depth=1
                                        ;     Parent Loop BB3_340 Depth=2
                                        ; =>    This Inner Loop Header: Depth=3
	s_add_u32 s26, s0, s22
	s_addc_u32 s27, s1, s23
	global_load_ubyte v1, v2, s[26:27]
	s_add_u32 s22, s22, 1
	s_addc_u32 s23, s23, 0
	s_waitcnt vmcnt(0)
	v_and_b32_e32 v1, 0xffff, v1
	v_lshlrev_b64 v[3:4], s20, v[1:2]
	s_add_u32 s20, s20, 8
	s_addc_u32 s21, s21, 0
	v_or_b32_e32 v17, v3, v17
	s_cmp_lg_u32 s24, s22
	v_or_b32_e32 v18, v4, v18
	s_cbranch_scc1 .LBB3_367
	s_branch .LBB3_370
.LBB3_368:                              ;   in Loop: Header=BB3_340 Depth=2
                                        ; implicit-def: $vgpr17_vgpr18
	s_mov_b32 s25, 0
	s_branch .LBB3_371
.LBB3_369:                              ;   in Loop: Header=BB3_340 Depth=2
	v_mov_b32_e32 v17, 0
	v_mov_b32_e32 v18, 0
.LBB3_370:                              ;   in Loop: Header=BB3_340 Depth=2
	s_mov_b64 s[20:21], s[0:1]
	s_mov_b32 s25, 0
	s_cbranch_execnz .LBB3_372
.LBB3_371:                              ;   in Loop: Header=BB3_340 Depth=2
	global_load_dwordx2 v[17:18], v2, s[0:1]
	s_add_i32 s25, s24, -8
.LBB3_372:                              ;   in Loop: Header=BB3_340 Depth=2
	s_add_u32 s0, s20, 8
	s_addc_u32 s1, s21, 0
	s_cmp_gt_u32 s25, 7
	s_cbranch_scc1 .LBB3_376
; %bb.373:                              ;   in Loop: Header=BB3_340 Depth=2
	s_cmp_eq_u32 s25, 0
	s_cbranch_scc1 .LBB3_377
; %bb.374:                              ;   in Loop: Header=BB3_340 Depth=2
	v_mov_b32_e32 v19, 0
	s_mov_b64 s[0:1], 0
	v_mov_b32_e32 v20, 0
	s_mov_b64 s[22:23], 0
.LBB3_375:                              ;   Parent Loop BB3_5 Depth=1
                                        ;     Parent Loop BB3_340 Depth=2
                                        ; =>    This Inner Loop Header: Depth=3
	s_add_u32 s26, s20, s22
	s_addc_u32 s27, s21, s23
	global_load_ubyte v1, v2, s[26:27]
	s_add_u32 s22, s22, 1
	s_addc_u32 s23, s23, 0
	s_waitcnt vmcnt(0)
	v_and_b32_e32 v1, 0xffff, v1
	v_lshlrev_b64 v[3:4], s0, v[1:2]
	s_add_u32 s0, s0, 8
	s_addc_u32 s1, s1, 0
	v_or_b32_e32 v19, v3, v19
	s_cmp_lg_u32 s25, s22
	v_or_b32_e32 v20, v4, v20
	s_cbranch_scc1 .LBB3_375
	s_branch .LBB3_378
.LBB3_376:                              ;   in Loop: Header=BB3_340 Depth=2
	s_mov_b32 s24, 0
	s_branch .LBB3_379
.LBB3_377:                              ;   in Loop: Header=BB3_340 Depth=2
	v_mov_b32_e32 v19, 0
	v_mov_b32_e32 v20, 0
.LBB3_378:                              ;   in Loop: Header=BB3_340 Depth=2
	s_mov_b64 s[0:1], s[20:21]
	s_mov_b32 s24, 0
	s_cbranch_execnz .LBB3_380
.LBB3_379:                              ;   in Loop: Header=BB3_340 Depth=2
	global_load_dwordx2 v[19:20], v2, s[20:21]
	s_add_i32 s24, s25, -8
.LBB3_380:                              ;   in Loop: Header=BB3_340 Depth=2
	s_add_u32 s20, s0, 8
	s_addc_u32 s21, s1, 0
	s_cmp_gt_u32 s24, 7
	s_cbranch_scc1 .LBB3_384
; %bb.381:                              ;   in Loop: Header=BB3_340 Depth=2
	s_cmp_eq_u32 s24, 0
	s_cbranch_scc1 .LBB3_385
; %bb.382:                              ;   in Loop: Header=BB3_340 Depth=2
	v_mov_b32_e32 v21, 0
	s_mov_b64 s[20:21], 0
	v_mov_b32_e32 v22, 0
	s_mov_b64 s[22:23], 0
.LBB3_383:                              ;   Parent Loop BB3_5 Depth=1
                                        ;     Parent Loop BB3_340 Depth=2
                                        ; =>    This Inner Loop Header: Depth=3
	s_add_u32 s26, s0, s22
	s_addc_u32 s27, s1, s23
	global_load_ubyte v1, v2, s[26:27]
	s_add_u32 s22, s22, 1
	s_addc_u32 s23, s23, 0
	s_waitcnt vmcnt(0)
	v_and_b32_e32 v1, 0xffff, v1
	v_lshlrev_b64 v[3:4], s20, v[1:2]
	s_add_u32 s20, s20, 8
	s_addc_u32 s21, s21, 0
	v_or_b32_e32 v21, v3, v21
	s_cmp_lg_u32 s24, s22
	v_or_b32_e32 v22, v4, v22
	s_cbranch_scc1 .LBB3_383
	s_branch .LBB3_386
.LBB3_384:                              ;   in Loop: Header=BB3_340 Depth=2
                                        ; implicit-def: $vgpr21_vgpr22
	s_mov_b32 s25, 0
	s_branch .LBB3_387
.LBB3_385:                              ;   in Loop: Header=BB3_340 Depth=2
	v_mov_b32_e32 v21, 0
	v_mov_b32_e32 v22, 0
.LBB3_386:                              ;   in Loop: Header=BB3_340 Depth=2
	s_mov_b64 s[20:21], s[0:1]
	s_mov_b32 s25, 0
	s_cbranch_execnz .LBB3_388
.LBB3_387:                              ;   in Loop: Header=BB3_340 Depth=2
	global_load_dwordx2 v[21:22], v2, s[0:1]
	s_add_i32 s25, s24, -8
.LBB3_388:                              ;   in Loop: Header=BB3_340 Depth=2
	s_cmp_gt_u32 s25, 7
	s_cbranch_scc1 .LBB3_392
; %bb.389:                              ;   in Loop: Header=BB3_340 Depth=2
	s_cmp_eq_u32 s25, 0
	s_cbranch_scc1 .LBB3_393
; %bb.390:                              ;   in Loop: Header=BB3_340 Depth=2
	v_mov_b32_e32 v23, 0
	s_mov_b64 s[0:1], 0
	v_mov_b32_e32 v24, 0
	s_mov_b64 s[22:23], s[20:21]
.LBB3_391:                              ;   Parent Loop BB3_5 Depth=1
                                        ;     Parent Loop BB3_340 Depth=2
                                        ; =>    This Inner Loop Header: Depth=3
	global_load_ubyte v1, v2, s[22:23]
	s_add_i32 s25, s25, -1
	s_waitcnt vmcnt(0)
	v_and_b32_e32 v1, 0xffff, v1
	v_lshlrev_b64 v[3:4], s0, v[1:2]
	s_add_u32 s0, s0, 8
	s_addc_u32 s1, s1, 0
	s_add_u32 s22, s22, 1
	s_addc_u32 s23, s23, 0
	v_or_b32_e32 v23, v3, v23
	s_cmp_lg_u32 s25, 0
	v_or_b32_e32 v24, v4, v24
	s_cbranch_scc1 .LBB3_391
	s_branch .LBB3_394
.LBB3_392:                              ;   in Loop: Header=BB3_340 Depth=2
	s_branch .LBB3_395
.LBB3_393:                              ;   in Loop: Header=BB3_340 Depth=2
	v_mov_b32_e32 v23, 0
	v_mov_b32_e32 v24, 0
.LBB3_394:                              ;   in Loop: Header=BB3_340 Depth=2
	s_cbranch_execnz .LBB3_396
.LBB3_395:                              ;   in Loop: Header=BB3_340 Depth=2
	global_load_dwordx2 v[23:24], v2, s[20:21]
.LBB3_396:                              ;   in Loop: Header=BB3_340 Depth=2
	v_readfirstlane_b32 s0, v36
	v_mov_b32_e32 v3, 0
	v_mov_b32_e32 v4, 0
	v_cmp_eq_u32_e64 s[0:1], s0, v36
	s_and_saveexec_b64 s[20:21], s[0:1]
	s_cbranch_execz .LBB3_402
; %bb.397:                              ;   in Loop: Header=BB3_340 Depth=2
	global_load_dwordx2 v[27:28], v2, s[2:3] offset:24 glc
	s_waitcnt vmcnt(0)
	buffer_wbinvl1_vol
	global_load_dwordx2 v[3:4], v2, s[2:3] offset:40
	global_load_dwordx2 v[25:26], v2, s[2:3]
	s_waitcnt vmcnt(1)
	v_and_b32_e32 v1, v3, v27
	v_and_b32_e32 v3, v4, v28
	v_mul_lo_u32 v3, v3, 24
	v_mul_hi_u32 v4, v1, 24
	v_mul_lo_u32 v1, v1, 24
	v_add_u32_e32 v4, v4, v3
	s_waitcnt vmcnt(0)
	v_add_co_u32_e32 v3, vcc, v25, v1
	v_addc_co_u32_e32 v4, vcc, v26, v4, vcc
	global_load_dwordx2 v[25:26], v[3:4], off glc
	s_waitcnt vmcnt(0)
	global_atomic_cmpswap_x2 v[3:4], v2, v[25:28], s[2:3] offset:24 glc
	s_waitcnt vmcnt(0)
	buffer_wbinvl1_vol
	v_cmp_ne_u64_e32 vcc, v[3:4], v[27:28]
	s_and_saveexec_b64 s[22:23], vcc
	s_cbranch_execz .LBB3_401
; %bb.398:                              ;   in Loop: Header=BB3_340 Depth=2
	s_mov_b64 s[24:25], 0
.LBB3_399:                              ;   Parent Loop BB3_5 Depth=1
                                        ;     Parent Loop BB3_340 Depth=2
                                        ; =>    This Inner Loop Header: Depth=3
	s_sleep 1
	global_load_dwordx2 v[25:26], v2, s[2:3] offset:40
	global_load_dwordx2 v[32:33], v2, s[2:3]
	v_mov_b32_e32 v28, v4
	v_mov_b32_e32 v27, v3
	s_waitcnt vmcnt(1)
	v_and_b32_e32 v1, v25, v27
	s_waitcnt vmcnt(0)
	v_mad_u64_u32 v[3:4], s[26:27], v1, 24, v[32:33]
	v_and_b32_e32 v25, v26, v28
	v_mov_b32_e32 v1, v4
	v_mad_u64_u32 v[25:26], s[26:27], v25, 24, v[1:2]
	v_mov_b32_e32 v4, v25
	global_load_dwordx2 v[25:26], v[3:4], off glc
	s_waitcnt vmcnt(0)
	global_atomic_cmpswap_x2 v[3:4], v2, v[25:28], s[2:3] offset:24 glc
	s_waitcnt vmcnt(0)
	buffer_wbinvl1_vol
	v_cmp_eq_u64_e32 vcc, v[3:4], v[27:28]
	s_or_b64 s[24:25], vcc, s[24:25]
	s_andn2_b64 exec, exec, s[24:25]
	s_cbranch_execnz .LBB3_399
; %bb.400:                              ;   in Loop: Header=BB3_340 Depth=2
	s_or_b64 exec, exec, s[24:25]
.LBB3_401:                              ;   in Loop: Header=BB3_340 Depth=2
	s_or_b64 exec, exec, s[22:23]
.LBB3_402:                              ;   in Loop: Header=BB3_340 Depth=2
	s_or_b64 exec, exec, s[20:21]
	global_load_dwordx2 v[32:33], v2, s[2:3] offset:40
	global_load_dwordx4 v[25:28], v2, s[2:3]
	v_readfirstlane_b32 s21, v4
	v_readfirstlane_b32 s20, v3
	s_mov_b64 s[22:23], exec
	s_waitcnt vmcnt(1)
	v_readfirstlane_b32 s24, v32
	v_readfirstlane_b32 s25, v33
	s_and_b64 s[24:25], s[24:25], s[20:21]
	s_mul_i32 s26, s25, 24
	s_mul_hi_u32 s27, s24, 24
	s_mul_i32 s33, s24, 24
	s_add_i32 s26, s27, s26
	v_mov_b32_e32 v1, s26
	s_waitcnt vmcnt(0)
	v_add_co_u32_e32 v32, vcc, s33, v25
	v_addc_co_u32_e32 v33, vcc, v26, v1, vcc
	s_and_saveexec_b64 s[26:27], s[0:1]
	s_cbranch_execz .LBB3_404
; %bb.403:                              ;   in Loop: Header=BB3_340 Depth=2
	v_mov_b32_e32 v3, s22
	v_mov_b32_e32 v4, s23
	global_store_dwordx4 v[32:33], v[3:6], off offset:8
.LBB3_404:                              ;   in Loop: Header=BB3_340 Depth=2
	s_or_b64 exec, exec, s[26:27]
	s_lshl_b64 s[22:23], s[24:25], 12
	v_mov_b32_e32 v1, s23
	v_add_co_u32_e32 v27, vcc, s22, v27
	v_addc_co_u32_e32 v28, vcc, v28, v1, vcc
	v_cmp_lt_u64_e64 vcc, s[16:17], 57
	s_lshl_b32 s22, s18, 2
	v_cndmask_b32_e32 v1, 0, v34, vcc
	s_add_i32 s22, s22, 28
	v_and_b32_e32 v3, 0xffffff1f, v7
	s_and_b32 s22, s22, 0x1e0
	v_or_b32_e32 v1, v3, v1
	v_or_b32_e32 v7, s22, v1
	v_readfirstlane_b32 s22, v27
	v_readfirstlane_b32 s23, v28
	s_nop 4
	global_store_dwordx4 v38, v[7:10], s[22:23]
	global_store_dwordx4 v38, v[13:16], s[22:23] offset:16
	global_store_dwordx4 v38, v[17:20], s[22:23] offset:32
	;; [unrolled: 1-line block ×3, first 2 shown]
	s_and_saveexec_b64 s[22:23], s[0:1]
	s_cbranch_execz .LBB3_412
; %bb.405:                              ;   in Loop: Header=BB3_340 Depth=2
	global_load_dwordx2 v[15:16], v2, s[2:3] offset:32 glc
	global_load_dwordx2 v[3:4], v2, s[2:3] offset:40
	v_mov_b32_e32 v13, s20
	v_mov_b32_e32 v14, s21
	s_waitcnt vmcnt(0)
	v_readfirstlane_b32 s24, v3
	v_readfirstlane_b32 s25, v4
	s_and_b64 s[24:25], s[24:25], s[20:21]
	s_mul_i32 s25, s25, 24
	s_mul_hi_u32 s26, s24, 24
	s_mul_i32 s24, s24, 24
	s_add_i32 s25, s26, s25
	v_mov_b32_e32 v1, s25
	v_add_co_u32_e32 v3, vcc, s24, v25
	v_addc_co_u32_e32 v4, vcc, v26, v1, vcc
	global_store_dwordx2 v[3:4], v[15:16], off
	s_waitcnt vmcnt(0)
	global_atomic_cmpswap_x2 v[9:10], v2, v[13:16], s[2:3] offset:32 glc
	s_waitcnt vmcnt(0)
	v_cmp_ne_u64_e32 vcc, v[9:10], v[15:16]
	s_and_saveexec_b64 s[24:25], vcc
	s_cbranch_execz .LBB3_408
; %bb.406:                              ;   in Loop: Header=BB3_340 Depth=2
	s_mov_b64 s[26:27], 0
.LBB3_407:                              ;   Parent Loop BB3_5 Depth=1
                                        ;     Parent Loop BB3_340 Depth=2
                                        ; =>    This Inner Loop Header: Depth=3
	s_sleep 1
	global_store_dwordx2 v[3:4], v[9:10], off
	v_mov_b32_e32 v7, s20
	v_mov_b32_e32 v8, s21
	s_waitcnt vmcnt(0)
	global_atomic_cmpswap_x2 v[7:8], v2, v[7:10], s[2:3] offset:32 glc
	s_waitcnt vmcnt(0)
	v_cmp_eq_u64_e32 vcc, v[7:8], v[9:10]
	v_mov_b32_e32 v10, v8
	s_or_b64 s[26:27], vcc, s[26:27]
	v_mov_b32_e32 v9, v7
	s_andn2_b64 exec, exec, s[26:27]
	s_cbranch_execnz .LBB3_407
.LBB3_408:                              ;   in Loop: Header=BB3_340 Depth=2
	s_or_b64 exec, exec, s[24:25]
	global_load_dwordx2 v[3:4], v2, s[2:3] offset:16
	s_mov_b64 s[26:27], exec
	v_mbcnt_lo_u32_b32 v1, s26, 0
	v_mbcnt_hi_u32_b32 v1, s27, v1
	v_cmp_eq_u32_e32 vcc, 0, v1
	s_and_saveexec_b64 s[24:25], vcc
	s_cbranch_execz .LBB3_410
; %bb.409:                              ;   in Loop: Header=BB3_340 Depth=2
	s_bcnt1_i32_b64 s26, s[26:27]
	v_mov_b32_e32 v1, s26
	s_waitcnt vmcnt(0)
	global_atomic_add_x2 v[3:4], v[1:2], off offset:8
.LBB3_410:                              ;   in Loop: Header=BB3_340 Depth=2
	s_or_b64 exec, exec, s[24:25]
	s_waitcnt vmcnt(0)
	global_load_dwordx2 v[7:8], v[3:4], off offset:16
	s_waitcnt vmcnt(0)
	v_cmp_eq_u64_e32 vcc, 0, v[7:8]
	s_cbranch_vccnz .LBB3_412
; %bb.411:                              ;   in Loop: Header=BB3_340 Depth=2
	global_load_dword v1, v[3:4], off offset:24
	s_waitcnt vmcnt(0)
	v_readfirstlane_b32 s24, v1
	s_and_b32 m0, s24, 0xffffff
	global_store_dwordx2 v[7:8], v[1:2], off
	s_sendmsg sendmsg(MSG_INTERRUPT)
.LBB3_412:                              ;   in Loop: Header=BB3_340 Depth=2
	s_or_b64 exec, exec, s[22:23]
	v_add_co_u32_e32 v3, vcc, v27, v38
	v_addc_co_u32_e32 v4, vcc, 0, v28, vcc
	s_branch .LBB3_416
.LBB3_413:                              ;   in Loop: Header=BB3_416 Depth=3
	s_or_b64 exec, exec, s[22:23]
	v_readfirstlane_b32 s22, v1
	s_cmp_eq_u32 s22, 0
	s_cbranch_scc1 .LBB3_415
; %bb.414:                              ;   in Loop: Header=BB3_416 Depth=3
	s_sleep 1
	s_cbranch_execnz .LBB3_416
	s_branch .LBB3_418
.LBB3_415:                              ;   in Loop: Header=BB3_340 Depth=2
	s_branch .LBB3_418
.LBB3_416:                              ;   Parent Loop BB3_5 Depth=1
                                        ;     Parent Loop BB3_340 Depth=2
                                        ; =>    This Inner Loop Header: Depth=3
	v_mov_b32_e32 v1, 1
	s_and_saveexec_b64 s[22:23], s[0:1]
	s_cbranch_execz .LBB3_413
; %bb.417:                              ;   in Loop: Header=BB3_416 Depth=3
	global_load_dword v1, v[32:33], off offset:20 glc
	s_waitcnt vmcnt(0)
	buffer_wbinvl1_vol
	v_and_b32_e32 v1, 1, v1
	s_branch .LBB3_413
.LBB3_418:                              ;   in Loop: Header=BB3_340 Depth=2
	global_load_dwordx2 v[7:8], v[3:4], off
	s_and_saveexec_b64 s[22:23], s[0:1]
	s_cbranch_execz .LBB3_339
; %bb.419:                              ;   in Loop: Header=BB3_340 Depth=2
	global_load_dwordx2 v[3:4], v2, s[2:3] offset:40
	global_load_dwordx2 v[17:18], v2, s[2:3] offset:24 glc
	global_load_dwordx2 v[9:10], v2, s[2:3]
	s_waitcnt vmcnt(2)
	v_readfirstlane_b32 s24, v3
	v_readfirstlane_b32 s25, v4
	s_add_u32 s26, s24, 1
	s_addc_u32 s27, s25, 0
	s_add_u32 s0, s26, s20
	s_addc_u32 s1, s27, s21
	s_cmp_eq_u64 s[0:1], 0
	s_cselect_b32 s1, s27, s1
	s_cselect_b32 s0, s26, s0
	s_and_b64 s[20:21], s[0:1], s[24:25]
	s_mul_i32 s21, s21, 24
	s_mul_hi_u32 s24, s20, 24
	s_mul_i32 s20, s20, 24
	s_add_i32 s21, s24, s21
	v_mov_b32_e32 v1, s21
	s_waitcnt vmcnt(0)
	v_add_co_u32_e32 v3, vcc, s20, v9
	v_addc_co_u32_e32 v4, vcc, v10, v1, vcc
	v_mov_b32_e32 v15, s0
	global_store_dwordx2 v[3:4], v[17:18], off
	v_mov_b32_e32 v16, s1
	s_waitcnt vmcnt(0)
	global_atomic_cmpswap_x2 v[15:16], v2, v[15:18], s[2:3] offset:24 glc
	s_waitcnt vmcnt(0)
	v_cmp_ne_u64_e32 vcc, v[15:16], v[17:18]
	s_and_b64 exec, exec, vcc
	s_cbranch_execz .LBB3_339
; %bb.420:                              ;   in Loop: Header=BB3_340 Depth=2
	s_mov_b64 s[20:21], 0
.LBB3_421:                              ;   Parent Loop BB3_5 Depth=1
                                        ;     Parent Loop BB3_340 Depth=2
                                        ; =>    This Inner Loop Header: Depth=3
	s_sleep 1
	global_store_dwordx2 v[3:4], v[15:16], off
	v_mov_b32_e32 v13, s0
	v_mov_b32_e32 v14, s1
	s_waitcnt vmcnt(0)
	global_atomic_cmpswap_x2 v[9:10], v2, v[13:16], s[2:3] offset:24 glc
	s_waitcnt vmcnt(0)
	v_cmp_eq_u64_e32 vcc, v[9:10], v[15:16]
	v_mov_b32_e32 v16, v10
	s_or_b64 s[20:21], vcc, s[20:21]
	v_mov_b32_e32 v15, v9
	s_andn2_b64 exec, exec, s[20:21]
	s_cbranch_execnz .LBB3_421
	s_branch .LBB3_339
.LBB3_422:                              ;   in Loop: Header=BB3_5 Depth=1
.LBB3_423:                              ;   in Loop: Header=BB3_5 Depth=1
	s_and_b64 vcc, exec, s[12:13]
	s_cbranch_vccz .LBB3_537
.LBB3_424:                              ;   in Loop: Header=BB3_5 Depth=1
	s_waitcnt vmcnt(0)
	v_and_b32_e32 v34, 2, v7
	v_and_b32_e32 v9, -3, v7
	v_mov_b32_e32 v10, v8
	s_mov_b64 s[16:17], 56
	s_getpc_b64 s[14:15]
	s_add_u32 s14, s14, .str.4@rel32@lo+4
	s_addc_u32 s15, s15, .str.4@rel32@hi+12
	s_branch .LBB3_426
.LBB3_425:                              ;   in Loop: Header=BB3_426 Depth=2
	s_or_b64 exec, exec, s[22:23]
	s_sub_u32 s16, s16, s18
	s_subb_u32 s17, s17, s19
	s_add_u32 s14, s14, s18
	s_addc_u32 s15, s15, s19
	s_cmp_lg_u64 s[16:17], 0
	s_cbranch_scc0 .LBB3_508
.LBB3_426:                              ;   Parent Loop BB3_5 Depth=1
                                        ; =>  This Loop Header: Depth=2
                                        ;       Child Loop BB3_429 Depth 3
                                        ;       Child Loop BB3_437 Depth 3
	;; [unrolled: 1-line block ×11, first 2 shown]
	v_cmp_lt_u64_e64 s[0:1], s[16:17], 56
	v_cmp_gt_u64_e64 s[20:21], s[16:17], 7
	s_and_b64 s[0:1], s[0:1], exec
	s_cselect_b32 s19, s17, 0
	s_cselect_b32 s18, s16, 56
	s_add_u32 s0, s14, 8
	s_addc_u32 s1, s15, 0
	s_and_b64 vcc, exec, s[20:21]
	s_cbranch_vccnz .LBB3_430
; %bb.427:                              ;   in Loop: Header=BB3_426 Depth=2
	s_cmp_eq_u64 s[16:17], 0
	s_cbranch_scc1 .LBB3_431
; %bb.428:                              ;   in Loop: Header=BB3_426 Depth=2
	v_mov_b32_e32 v11, 0
	s_lshl_b64 s[0:1], s[18:19], 3
	s_mov_b64 s[20:21], 0
	v_mov_b32_e32 v12, 0
	s_mov_b64 s[22:23], s[14:15]
.LBB3_429:                              ;   Parent Loop BB3_5 Depth=1
                                        ;     Parent Loop BB3_426 Depth=2
                                        ; =>    This Inner Loop Header: Depth=3
	global_load_ubyte v1, v2, s[22:23]
	s_waitcnt vmcnt(0)
	v_and_b32_e32 v1, 0xffff, v1
	v_lshlrev_b64 v[3:4], s20, v[1:2]
	s_add_u32 s20, s20, 8
	s_addc_u32 s21, s21, 0
	s_add_u32 s22, s22, 1
	s_addc_u32 s23, s23, 0
	v_or_b32_e32 v11, v3, v11
	s_cmp_lg_u32 s0, s20
	v_or_b32_e32 v12, v4, v12
	s_cbranch_scc1 .LBB3_429
	s_branch .LBB3_432
.LBB3_430:                              ;   in Loop: Header=BB3_426 Depth=2
	s_mov_b32 s24, 0
	s_branch .LBB3_433
.LBB3_431:                              ;   in Loop: Header=BB3_426 Depth=2
	v_mov_b32_e32 v11, 0
	v_mov_b32_e32 v12, 0
.LBB3_432:                              ;   in Loop: Header=BB3_426 Depth=2
	s_mov_b64 s[0:1], s[14:15]
	s_mov_b32 s24, 0
	s_cbranch_execnz .LBB3_434
.LBB3_433:                              ;   in Loop: Header=BB3_426 Depth=2
	global_load_dwordx2 v[11:12], v2, s[14:15]
	s_add_i32 s24, s18, -8
.LBB3_434:                              ;   in Loop: Header=BB3_426 Depth=2
	s_add_u32 s20, s0, 8
	s_addc_u32 s21, s1, 0
	s_cmp_gt_u32 s24, 7
	s_cbranch_scc1 .LBB3_438
; %bb.435:                              ;   in Loop: Header=BB3_426 Depth=2
	s_cmp_eq_u32 s24, 0
	s_cbranch_scc1 .LBB3_439
; %bb.436:                              ;   in Loop: Header=BB3_426 Depth=2
	v_mov_b32_e32 v13, 0
	s_mov_b64 s[20:21], 0
	v_mov_b32_e32 v14, 0
	s_mov_b64 s[22:23], 0
.LBB3_437:                              ;   Parent Loop BB3_5 Depth=1
                                        ;     Parent Loop BB3_426 Depth=2
                                        ; =>    This Inner Loop Header: Depth=3
	s_add_u32 s26, s0, s22
	s_addc_u32 s27, s1, s23
	global_load_ubyte v1, v2, s[26:27]
	s_add_u32 s22, s22, 1
	s_addc_u32 s23, s23, 0
	s_waitcnt vmcnt(0)
	v_and_b32_e32 v1, 0xffff, v1
	v_lshlrev_b64 v[3:4], s20, v[1:2]
	s_add_u32 s20, s20, 8
	s_addc_u32 s21, s21, 0
	v_or_b32_e32 v13, v3, v13
	s_cmp_lg_u32 s24, s22
	v_or_b32_e32 v14, v4, v14
	s_cbranch_scc1 .LBB3_437
	s_branch .LBB3_440
.LBB3_438:                              ;   in Loop: Header=BB3_426 Depth=2
                                        ; implicit-def: $vgpr13_vgpr14
	s_mov_b32 s25, 0
	s_branch .LBB3_441
.LBB3_439:                              ;   in Loop: Header=BB3_426 Depth=2
	v_mov_b32_e32 v13, 0
	v_mov_b32_e32 v14, 0
.LBB3_440:                              ;   in Loop: Header=BB3_426 Depth=2
	s_mov_b64 s[20:21], s[0:1]
	s_mov_b32 s25, 0
	s_cbranch_execnz .LBB3_442
.LBB3_441:                              ;   in Loop: Header=BB3_426 Depth=2
	global_load_dwordx2 v[13:14], v2, s[0:1]
	s_add_i32 s25, s24, -8
.LBB3_442:                              ;   in Loop: Header=BB3_426 Depth=2
	s_add_u32 s0, s20, 8
	s_addc_u32 s1, s21, 0
	s_cmp_gt_u32 s25, 7
	s_cbranch_scc1 .LBB3_446
; %bb.443:                              ;   in Loop: Header=BB3_426 Depth=2
	s_cmp_eq_u32 s25, 0
	s_cbranch_scc1 .LBB3_447
; %bb.444:                              ;   in Loop: Header=BB3_426 Depth=2
	v_mov_b32_e32 v15, 0
	s_mov_b64 s[0:1], 0
	v_mov_b32_e32 v16, 0
	s_mov_b64 s[22:23], 0
.LBB3_445:                              ;   Parent Loop BB3_5 Depth=1
                                        ;     Parent Loop BB3_426 Depth=2
                                        ; =>    This Inner Loop Header: Depth=3
	s_add_u32 s26, s20, s22
	s_addc_u32 s27, s21, s23
	global_load_ubyte v1, v2, s[26:27]
	s_add_u32 s22, s22, 1
	s_addc_u32 s23, s23, 0
	s_waitcnt vmcnt(0)
	v_and_b32_e32 v1, 0xffff, v1
	v_lshlrev_b64 v[3:4], s0, v[1:2]
	s_add_u32 s0, s0, 8
	s_addc_u32 s1, s1, 0
	v_or_b32_e32 v15, v3, v15
	s_cmp_lg_u32 s25, s22
	v_or_b32_e32 v16, v4, v16
	s_cbranch_scc1 .LBB3_445
	s_branch .LBB3_448
.LBB3_446:                              ;   in Loop: Header=BB3_426 Depth=2
	s_mov_b32 s24, 0
	s_branch .LBB3_449
.LBB3_447:                              ;   in Loop: Header=BB3_426 Depth=2
	v_mov_b32_e32 v15, 0
	v_mov_b32_e32 v16, 0
.LBB3_448:                              ;   in Loop: Header=BB3_426 Depth=2
	s_mov_b64 s[0:1], s[20:21]
	s_mov_b32 s24, 0
	s_cbranch_execnz .LBB3_450
.LBB3_449:                              ;   in Loop: Header=BB3_426 Depth=2
	global_load_dwordx2 v[15:16], v2, s[20:21]
	s_add_i32 s24, s25, -8
.LBB3_450:                              ;   in Loop: Header=BB3_426 Depth=2
	s_add_u32 s20, s0, 8
	s_addc_u32 s21, s1, 0
	s_cmp_gt_u32 s24, 7
	s_cbranch_scc1 .LBB3_454
; %bb.451:                              ;   in Loop: Header=BB3_426 Depth=2
	s_cmp_eq_u32 s24, 0
	s_cbranch_scc1 .LBB3_455
; %bb.452:                              ;   in Loop: Header=BB3_426 Depth=2
	v_mov_b32_e32 v17, 0
	s_mov_b64 s[20:21], 0
	v_mov_b32_e32 v18, 0
	s_mov_b64 s[22:23], 0
.LBB3_453:                              ;   Parent Loop BB3_5 Depth=1
                                        ;     Parent Loop BB3_426 Depth=2
                                        ; =>    This Inner Loop Header: Depth=3
	s_add_u32 s26, s0, s22
	s_addc_u32 s27, s1, s23
	global_load_ubyte v1, v2, s[26:27]
	s_add_u32 s22, s22, 1
	s_addc_u32 s23, s23, 0
	s_waitcnt vmcnt(0)
	v_and_b32_e32 v1, 0xffff, v1
	v_lshlrev_b64 v[3:4], s20, v[1:2]
	s_add_u32 s20, s20, 8
	s_addc_u32 s21, s21, 0
	v_or_b32_e32 v17, v3, v17
	s_cmp_lg_u32 s24, s22
	v_or_b32_e32 v18, v4, v18
	s_cbranch_scc1 .LBB3_453
	s_branch .LBB3_456
.LBB3_454:                              ;   in Loop: Header=BB3_426 Depth=2
                                        ; implicit-def: $vgpr17_vgpr18
	s_mov_b32 s25, 0
	s_branch .LBB3_457
.LBB3_455:                              ;   in Loop: Header=BB3_426 Depth=2
	v_mov_b32_e32 v17, 0
	v_mov_b32_e32 v18, 0
.LBB3_456:                              ;   in Loop: Header=BB3_426 Depth=2
	s_mov_b64 s[20:21], s[0:1]
	s_mov_b32 s25, 0
	s_cbranch_execnz .LBB3_458
.LBB3_457:                              ;   in Loop: Header=BB3_426 Depth=2
	global_load_dwordx2 v[17:18], v2, s[0:1]
	s_add_i32 s25, s24, -8
.LBB3_458:                              ;   in Loop: Header=BB3_426 Depth=2
	s_add_u32 s0, s20, 8
	s_addc_u32 s1, s21, 0
	s_cmp_gt_u32 s25, 7
	s_cbranch_scc1 .LBB3_462
; %bb.459:                              ;   in Loop: Header=BB3_426 Depth=2
	s_cmp_eq_u32 s25, 0
	s_cbranch_scc1 .LBB3_463
; %bb.460:                              ;   in Loop: Header=BB3_426 Depth=2
	v_mov_b32_e32 v19, 0
	s_mov_b64 s[0:1], 0
	v_mov_b32_e32 v20, 0
	s_mov_b64 s[22:23], 0
.LBB3_461:                              ;   Parent Loop BB3_5 Depth=1
                                        ;     Parent Loop BB3_426 Depth=2
                                        ; =>    This Inner Loop Header: Depth=3
	s_add_u32 s26, s20, s22
	s_addc_u32 s27, s21, s23
	global_load_ubyte v1, v2, s[26:27]
	s_add_u32 s22, s22, 1
	s_addc_u32 s23, s23, 0
	s_waitcnt vmcnt(0)
	v_and_b32_e32 v1, 0xffff, v1
	v_lshlrev_b64 v[3:4], s0, v[1:2]
	s_add_u32 s0, s0, 8
	s_addc_u32 s1, s1, 0
	v_or_b32_e32 v19, v3, v19
	s_cmp_lg_u32 s25, s22
	v_or_b32_e32 v20, v4, v20
	s_cbranch_scc1 .LBB3_461
	s_branch .LBB3_464
.LBB3_462:                              ;   in Loop: Header=BB3_426 Depth=2
	s_mov_b32 s24, 0
	s_branch .LBB3_465
.LBB3_463:                              ;   in Loop: Header=BB3_426 Depth=2
	v_mov_b32_e32 v19, 0
	v_mov_b32_e32 v20, 0
.LBB3_464:                              ;   in Loop: Header=BB3_426 Depth=2
	s_mov_b64 s[0:1], s[20:21]
	s_mov_b32 s24, 0
	s_cbranch_execnz .LBB3_466
.LBB3_465:                              ;   in Loop: Header=BB3_426 Depth=2
	global_load_dwordx2 v[19:20], v2, s[20:21]
	s_add_i32 s24, s25, -8
.LBB3_466:                              ;   in Loop: Header=BB3_426 Depth=2
	s_add_u32 s20, s0, 8
	s_addc_u32 s21, s1, 0
	s_cmp_gt_u32 s24, 7
	s_cbranch_scc1 .LBB3_470
; %bb.467:                              ;   in Loop: Header=BB3_426 Depth=2
	s_cmp_eq_u32 s24, 0
	s_cbranch_scc1 .LBB3_471
; %bb.468:                              ;   in Loop: Header=BB3_426 Depth=2
	v_mov_b32_e32 v21, 0
	s_mov_b64 s[20:21], 0
	v_mov_b32_e32 v22, 0
	s_mov_b64 s[22:23], 0
.LBB3_469:                              ;   Parent Loop BB3_5 Depth=1
                                        ;     Parent Loop BB3_426 Depth=2
                                        ; =>    This Inner Loop Header: Depth=3
	s_add_u32 s26, s0, s22
	s_addc_u32 s27, s1, s23
	global_load_ubyte v1, v2, s[26:27]
	s_add_u32 s22, s22, 1
	s_addc_u32 s23, s23, 0
	s_waitcnt vmcnt(0)
	v_and_b32_e32 v1, 0xffff, v1
	v_lshlrev_b64 v[3:4], s20, v[1:2]
	s_add_u32 s20, s20, 8
	s_addc_u32 s21, s21, 0
	v_or_b32_e32 v21, v3, v21
	s_cmp_lg_u32 s24, s22
	v_or_b32_e32 v22, v4, v22
	s_cbranch_scc1 .LBB3_469
	s_branch .LBB3_472
.LBB3_470:                              ;   in Loop: Header=BB3_426 Depth=2
                                        ; implicit-def: $vgpr21_vgpr22
	s_mov_b32 s25, 0
	s_branch .LBB3_473
.LBB3_471:                              ;   in Loop: Header=BB3_426 Depth=2
	v_mov_b32_e32 v21, 0
	v_mov_b32_e32 v22, 0
.LBB3_472:                              ;   in Loop: Header=BB3_426 Depth=2
	s_mov_b64 s[20:21], s[0:1]
	s_mov_b32 s25, 0
	s_cbranch_execnz .LBB3_474
.LBB3_473:                              ;   in Loop: Header=BB3_426 Depth=2
	global_load_dwordx2 v[21:22], v2, s[0:1]
	s_add_i32 s25, s24, -8
.LBB3_474:                              ;   in Loop: Header=BB3_426 Depth=2
	s_cmp_gt_u32 s25, 7
	s_cbranch_scc1 .LBB3_478
; %bb.475:                              ;   in Loop: Header=BB3_426 Depth=2
	s_cmp_eq_u32 s25, 0
	s_cbranch_scc1 .LBB3_479
; %bb.476:                              ;   in Loop: Header=BB3_426 Depth=2
	v_mov_b32_e32 v23, 0
	s_mov_b64 s[0:1], 0
	v_mov_b32_e32 v24, 0
	s_mov_b64 s[22:23], s[20:21]
.LBB3_477:                              ;   Parent Loop BB3_5 Depth=1
                                        ;     Parent Loop BB3_426 Depth=2
                                        ; =>    This Inner Loop Header: Depth=3
	global_load_ubyte v1, v2, s[22:23]
	s_add_i32 s25, s25, -1
	s_waitcnt vmcnt(0)
	v_and_b32_e32 v1, 0xffff, v1
	v_lshlrev_b64 v[3:4], s0, v[1:2]
	s_add_u32 s0, s0, 8
	s_addc_u32 s1, s1, 0
	s_add_u32 s22, s22, 1
	s_addc_u32 s23, s23, 0
	v_or_b32_e32 v23, v3, v23
	s_cmp_lg_u32 s25, 0
	v_or_b32_e32 v24, v4, v24
	s_cbranch_scc1 .LBB3_477
	s_branch .LBB3_480
.LBB3_478:                              ;   in Loop: Header=BB3_426 Depth=2
	s_branch .LBB3_481
.LBB3_479:                              ;   in Loop: Header=BB3_426 Depth=2
	v_mov_b32_e32 v23, 0
	v_mov_b32_e32 v24, 0
.LBB3_480:                              ;   in Loop: Header=BB3_426 Depth=2
	s_cbranch_execnz .LBB3_482
.LBB3_481:                              ;   in Loop: Header=BB3_426 Depth=2
	global_load_dwordx2 v[23:24], v2, s[20:21]
.LBB3_482:                              ;   in Loop: Header=BB3_426 Depth=2
	v_readfirstlane_b32 s0, v36
	v_mov_b32_e32 v3, 0
	v_mov_b32_e32 v4, 0
	v_cmp_eq_u32_e64 s[0:1], s0, v36
	s_and_saveexec_b64 s[20:21], s[0:1]
	s_cbranch_execz .LBB3_488
; %bb.483:                              ;   in Loop: Header=BB3_426 Depth=2
	global_load_dwordx2 v[27:28], v2, s[2:3] offset:24 glc
	s_waitcnt vmcnt(0)
	buffer_wbinvl1_vol
	global_load_dwordx2 v[3:4], v2, s[2:3] offset:40
	global_load_dwordx2 v[25:26], v2, s[2:3]
	s_waitcnt vmcnt(1)
	v_and_b32_e32 v1, v3, v27
	v_and_b32_e32 v3, v4, v28
	v_mul_lo_u32 v3, v3, 24
	v_mul_hi_u32 v4, v1, 24
	v_mul_lo_u32 v1, v1, 24
	v_add_u32_e32 v4, v4, v3
	s_waitcnt vmcnt(0)
	v_add_co_u32_e32 v3, vcc, v25, v1
	v_addc_co_u32_e32 v4, vcc, v26, v4, vcc
	global_load_dwordx2 v[25:26], v[3:4], off glc
	s_waitcnt vmcnt(0)
	global_atomic_cmpswap_x2 v[3:4], v2, v[25:28], s[2:3] offset:24 glc
	s_waitcnt vmcnt(0)
	buffer_wbinvl1_vol
	v_cmp_ne_u64_e32 vcc, v[3:4], v[27:28]
	s_and_saveexec_b64 s[22:23], vcc
	s_cbranch_execz .LBB3_487
; %bb.484:                              ;   in Loop: Header=BB3_426 Depth=2
	s_mov_b64 s[24:25], 0
.LBB3_485:                              ;   Parent Loop BB3_5 Depth=1
                                        ;     Parent Loop BB3_426 Depth=2
                                        ; =>    This Inner Loop Header: Depth=3
	s_sleep 1
	global_load_dwordx2 v[25:26], v2, s[2:3] offset:40
	global_load_dwordx2 v[32:33], v2, s[2:3]
	v_mov_b32_e32 v28, v4
	v_mov_b32_e32 v27, v3
	s_waitcnt vmcnt(1)
	v_and_b32_e32 v1, v25, v27
	s_waitcnt vmcnt(0)
	v_mad_u64_u32 v[3:4], s[26:27], v1, 24, v[32:33]
	v_and_b32_e32 v25, v26, v28
	v_mov_b32_e32 v1, v4
	v_mad_u64_u32 v[25:26], s[26:27], v25, 24, v[1:2]
	v_mov_b32_e32 v4, v25
	global_load_dwordx2 v[25:26], v[3:4], off glc
	s_waitcnt vmcnt(0)
	global_atomic_cmpswap_x2 v[3:4], v2, v[25:28], s[2:3] offset:24 glc
	s_waitcnt vmcnt(0)
	buffer_wbinvl1_vol
	v_cmp_eq_u64_e32 vcc, v[3:4], v[27:28]
	s_or_b64 s[24:25], vcc, s[24:25]
	s_andn2_b64 exec, exec, s[24:25]
	s_cbranch_execnz .LBB3_485
; %bb.486:                              ;   in Loop: Header=BB3_426 Depth=2
	s_or_b64 exec, exec, s[24:25]
.LBB3_487:                              ;   in Loop: Header=BB3_426 Depth=2
	s_or_b64 exec, exec, s[22:23]
.LBB3_488:                              ;   in Loop: Header=BB3_426 Depth=2
	s_or_b64 exec, exec, s[20:21]
	global_load_dwordx2 v[32:33], v2, s[2:3] offset:40
	global_load_dwordx4 v[25:28], v2, s[2:3]
	v_readfirstlane_b32 s21, v4
	v_readfirstlane_b32 s20, v3
	s_mov_b64 s[22:23], exec
	s_waitcnt vmcnt(1)
	v_readfirstlane_b32 s24, v32
	v_readfirstlane_b32 s25, v33
	s_and_b64 s[24:25], s[24:25], s[20:21]
	s_mul_i32 s26, s25, 24
	s_mul_hi_u32 s27, s24, 24
	s_mul_i32 s33, s24, 24
	s_add_i32 s26, s27, s26
	v_mov_b32_e32 v1, s26
	s_waitcnt vmcnt(0)
	v_add_co_u32_e32 v32, vcc, s33, v25
	v_addc_co_u32_e32 v33, vcc, v26, v1, vcc
	s_and_saveexec_b64 s[26:27], s[0:1]
	s_cbranch_execz .LBB3_490
; %bb.489:                              ;   in Loop: Header=BB3_426 Depth=2
	v_mov_b32_e32 v3, s22
	v_mov_b32_e32 v4, s23
	global_store_dwordx4 v[32:33], v[3:6], off offset:8
.LBB3_490:                              ;   in Loop: Header=BB3_426 Depth=2
	s_or_b64 exec, exec, s[26:27]
	s_lshl_b64 s[22:23], s[24:25], 12
	v_mov_b32_e32 v1, s23
	v_add_co_u32_e32 v27, vcc, s22, v27
	v_addc_co_u32_e32 v28, vcc, v28, v1, vcc
	v_cmp_lt_u64_e64 vcc, s[16:17], 57
	s_lshl_b32 s22, s18, 2
	v_cndmask_b32_e32 v1, 0, v34, vcc
	s_add_i32 s22, s22, 28
	v_and_b32_e32 v3, 0xffffff1f, v9
	s_and_b32 s22, s22, 0x1e0
	v_or_b32_e32 v1, v3, v1
	v_or_b32_e32 v9, s22, v1
	v_readfirstlane_b32 s22, v27
	v_readfirstlane_b32 s23, v28
	s_nop 4
	global_store_dwordx4 v38, v[9:12], s[22:23]
	global_store_dwordx4 v38, v[13:16], s[22:23] offset:16
	global_store_dwordx4 v38, v[17:20], s[22:23] offset:32
	global_store_dwordx4 v38, v[21:24], s[22:23] offset:48
	s_and_saveexec_b64 s[22:23], s[0:1]
	s_cbranch_execz .LBB3_498
; %bb.491:                              ;   in Loop: Header=BB3_426 Depth=2
	global_load_dwordx2 v[13:14], v2, s[2:3] offset:32 glc
	global_load_dwordx2 v[3:4], v2, s[2:3] offset:40
	v_mov_b32_e32 v11, s20
	v_mov_b32_e32 v12, s21
	s_waitcnt vmcnt(0)
	v_readfirstlane_b32 s24, v3
	v_readfirstlane_b32 s25, v4
	s_and_b64 s[24:25], s[24:25], s[20:21]
	s_mul_i32 s25, s25, 24
	s_mul_hi_u32 s26, s24, 24
	s_mul_i32 s24, s24, 24
	s_add_i32 s25, s26, s25
	v_mov_b32_e32 v1, s25
	v_add_co_u32_e32 v3, vcc, s24, v25
	v_addc_co_u32_e32 v4, vcc, v26, v1, vcc
	global_store_dwordx2 v[3:4], v[13:14], off
	s_waitcnt vmcnt(0)
	global_atomic_cmpswap_x2 v[11:12], v2, v[11:14], s[2:3] offset:32 glc
	s_waitcnt vmcnt(0)
	v_cmp_ne_u64_e32 vcc, v[11:12], v[13:14]
	s_and_saveexec_b64 s[24:25], vcc
	s_cbranch_execz .LBB3_494
; %bb.492:                              ;   in Loop: Header=BB3_426 Depth=2
	s_mov_b64 s[26:27], 0
.LBB3_493:                              ;   Parent Loop BB3_5 Depth=1
                                        ;     Parent Loop BB3_426 Depth=2
                                        ; =>    This Inner Loop Header: Depth=3
	s_sleep 1
	global_store_dwordx2 v[3:4], v[11:12], off
	v_mov_b32_e32 v9, s20
	v_mov_b32_e32 v10, s21
	s_waitcnt vmcnt(0)
	global_atomic_cmpswap_x2 v[9:10], v2, v[9:12], s[2:3] offset:32 glc
	s_waitcnt vmcnt(0)
	v_cmp_eq_u64_e32 vcc, v[9:10], v[11:12]
	v_mov_b32_e32 v12, v10
	s_or_b64 s[26:27], vcc, s[26:27]
	v_mov_b32_e32 v11, v9
	s_andn2_b64 exec, exec, s[26:27]
	s_cbranch_execnz .LBB3_493
.LBB3_494:                              ;   in Loop: Header=BB3_426 Depth=2
	s_or_b64 exec, exec, s[24:25]
	global_load_dwordx2 v[3:4], v2, s[2:3] offset:16
	s_mov_b64 s[26:27], exec
	v_mbcnt_lo_u32_b32 v1, s26, 0
	v_mbcnt_hi_u32_b32 v1, s27, v1
	v_cmp_eq_u32_e32 vcc, 0, v1
	s_and_saveexec_b64 s[24:25], vcc
	s_cbranch_execz .LBB3_496
; %bb.495:                              ;   in Loop: Header=BB3_426 Depth=2
	s_bcnt1_i32_b64 s26, s[26:27]
	v_mov_b32_e32 v1, s26
	s_waitcnt vmcnt(0)
	global_atomic_add_x2 v[3:4], v[1:2], off offset:8
.LBB3_496:                              ;   in Loop: Header=BB3_426 Depth=2
	s_or_b64 exec, exec, s[24:25]
	s_waitcnt vmcnt(0)
	global_load_dwordx2 v[9:10], v[3:4], off offset:16
	s_waitcnt vmcnt(0)
	v_cmp_eq_u64_e32 vcc, 0, v[9:10]
	s_cbranch_vccnz .LBB3_498
; %bb.497:                              ;   in Loop: Header=BB3_426 Depth=2
	global_load_dword v1, v[3:4], off offset:24
	s_waitcnt vmcnt(0)
	v_readfirstlane_b32 s24, v1
	s_and_b32 m0, s24, 0xffffff
	global_store_dwordx2 v[9:10], v[1:2], off
	s_sendmsg sendmsg(MSG_INTERRUPT)
.LBB3_498:                              ;   in Loop: Header=BB3_426 Depth=2
	s_or_b64 exec, exec, s[22:23]
	v_add_co_u32_e32 v3, vcc, v27, v38
	v_addc_co_u32_e32 v4, vcc, 0, v28, vcc
	s_branch .LBB3_502
.LBB3_499:                              ;   in Loop: Header=BB3_502 Depth=3
	s_or_b64 exec, exec, s[22:23]
	v_readfirstlane_b32 s22, v1
	s_cmp_eq_u32 s22, 0
	s_cbranch_scc1 .LBB3_501
; %bb.500:                              ;   in Loop: Header=BB3_502 Depth=3
	s_sleep 1
	s_cbranch_execnz .LBB3_502
	s_branch .LBB3_504
.LBB3_501:                              ;   in Loop: Header=BB3_426 Depth=2
	s_branch .LBB3_504
.LBB3_502:                              ;   Parent Loop BB3_5 Depth=1
                                        ;     Parent Loop BB3_426 Depth=2
                                        ; =>    This Inner Loop Header: Depth=3
	v_mov_b32_e32 v1, 1
	s_and_saveexec_b64 s[22:23], s[0:1]
	s_cbranch_execz .LBB3_499
; %bb.503:                              ;   in Loop: Header=BB3_502 Depth=3
	global_load_dword v1, v[32:33], off offset:20 glc
	s_waitcnt vmcnt(0)
	buffer_wbinvl1_vol
	v_and_b32_e32 v1, 1, v1
	s_branch .LBB3_499
.LBB3_504:                              ;   in Loop: Header=BB3_426 Depth=2
	global_load_dwordx2 v[9:10], v[3:4], off
	s_and_saveexec_b64 s[22:23], s[0:1]
	s_cbranch_execz .LBB3_425
; %bb.505:                              ;   in Loop: Header=BB3_426 Depth=2
	global_load_dwordx2 v[3:4], v2, s[2:3] offset:40
	global_load_dwordx2 v[15:16], v2, s[2:3] offset:24 glc
	global_load_dwordx2 v[11:12], v2, s[2:3]
	s_waitcnt vmcnt(2)
	v_readfirstlane_b32 s24, v3
	v_readfirstlane_b32 s25, v4
	s_add_u32 s26, s24, 1
	s_addc_u32 s27, s25, 0
	s_add_u32 s0, s26, s20
	s_addc_u32 s1, s27, s21
	s_cmp_eq_u64 s[0:1], 0
	s_cselect_b32 s1, s27, s1
	s_cselect_b32 s0, s26, s0
	s_and_b64 s[20:21], s[0:1], s[24:25]
	s_mul_i32 s21, s21, 24
	s_mul_hi_u32 s24, s20, 24
	s_mul_i32 s20, s20, 24
	s_add_i32 s21, s24, s21
	v_mov_b32_e32 v1, s21
	s_waitcnt vmcnt(0)
	v_add_co_u32_e32 v3, vcc, s20, v11
	v_addc_co_u32_e32 v4, vcc, v12, v1, vcc
	v_mov_b32_e32 v13, s0
	global_store_dwordx2 v[3:4], v[15:16], off
	v_mov_b32_e32 v14, s1
	s_waitcnt vmcnt(0)
	global_atomic_cmpswap_x2 v[13:14], v2, v[13:16], s[2:3] offset:24 glc
	s_waitcnt vmcnt(0)
	v_cmp_ne_u64_e32 vcc, v[13:14], v[15:16]
	s_and_b64 exec, exec, vcc
	s_cbranch_execz .LBB3_425
; %bb.506:                              ;   in Loop: Header=BB3_426 Depth=2
	s_mov_b64 s[20:21], 0
.LBB3_507:                              ;   Parent Loop BB3_5 Depth=1
                                        ;     Parent Loop BB3_426 Depth=2
                                        ; =>    This Inner Loop Header: Depth=3
	s_sleep 1
	global_store_dwordx2 v[3:4], v[13:14], off
	v_mov_b32_e32 v11, s0
	v_mov_b32_e32 v12, s1
	s_waitcnt vmcnt(0)
	global_atomic_cmpswap_x2 v[11:12], v2, v[11:14], s[2:3] offset:24 glc
	s_waitcnt vmcnt(0)
	v_cmp_eq_u64_e32 vcc, v[11:12], v[13:14]
	v_mov_b32_e32 v14, v12
	s_or_b64 s[20:21], vcc, s[20:21]
	v_mov_b32_e32 v13, v11
	s_andn2_b64 exec, exec, s[20:21]
	s_cbranch_execnz .LBB3_507
	s_branch .LBB3_425
.LBB3_508:                              ;   in Loop: Header=BB3_5 Depth=1
	s_branch .LBB3_565
.LBB3_509:                              ;   in Loop: Header=BB3_5 Depth=1
                                        ; implicit-def: $vgpr7_vgpr8
	s_cbranch_execz .LBB3_423
; %bb.510:                              ;   in Loop: Header=BB3_5 Depth=1
	v_readfirstlane_b32 s0, v36
	v_mov_b32_e32 v3, 0
	v_mov_b32_e32 v4, 0
	v_cmp_eq_u32_e64 s[0:1], s0, v36
	s_and_saveexec_b64 s[14:15], s[0:1]
	s_cbranch_execz .LBB3_516
; %bb.511:                              ;   in Loop: Header=BB3_5 Depth=1
	global_load_dwordx2 v[9:10], v2, s[2:3] offset:24 glc
	s_waitcnt vmcnt(0)
	buffer_wbinvl1_vol
	global_load_dwordx2 v[3:4], v2, s[2:3] offset:40
	global_load_dwordx2 v[7:8], v2, s[2:3]
	s_waitcnt vmcnt(1)
	v_and_b32_e32 v1, v3, v9
	v_and_b32_e32 v3, v4, v10
	v_mul_lo_u32 v3, v3, 24
	v_mul_hi_u32 v4, v1, 24
	v_mul_lo_u32 v1, v1, 24
	v_add_u32_e32 v4, v4, v3
	s_waitcnt vmcnt(0)
	v_add_co_u32_e32 v3, vcc, v7, v1
	v_addc_co_u32_e32 v4, vcc, v8, v4, vcc
	global_load_dwordx2 v[7:8], v[3:4], off glc
	s_waitcnt vmcnt(0)
	global_atomic_cmpswap_x2 v[3:4], v2, v[7:10], s[2:3] offset:24 glc
	s_waitcnt vmcnt(0)
	buffer_wbinvl1_vol
	v_cmp_ne_u64_e32 vcc, v[3:4], v[9:10]
	s_and_saveexec_b64 s[16:17], vcc
	s_cbranch_execz .LBB3_515
; %bb.512:                              ;   in Loop: Header=BB3_5 Depth=1
	s_mov_b64 s[18:19], 0
.LBB3_513:                              ;   Parent Loop BB3_5 Depth=1
                                        ; =>  This Inner Loop Header: Depth=2
	s_sleep 1
	global_load_dwordx2 v[7:8], v2, s[2:3] offset:40
	global_load_dwordx2 v[13:14], v2, s[2:3]
	v_mov_b32_e32 v10, v4
	v_mov_b32_e32 v9, v3
	s_waitcnt vmcnt(1)
	v_and_b32_e32 v1, v7, v9
	s_waitcnt vmcnt(0)
	v_mad_u64_u32 v[3:4], s[20:21], v1, 24, v[13:14]
	v_and_b32_e32 v7, v8, v10
	v_mov_b32_e32 v1, v4
	v_mad_u64_u32 v[7:8], s[20:21], v7, 24, v[1:2]
	v_mov_b32_e32 v4, v7
	global_load_dwordx2 v[7:8], v[3:4], off glc
	s_waitcnt vmcnt(0)
	global_atomic_cmpswap_x2 v[3:4], v2, v[7:10], s[2:3] offset:24 glc
	s_waitcnt vmcnt(0)
	buffer_wbinvl1_vol
	v_cmp_eq_u64_e32 vcc, v[3:4], v[9:10]
	s_or_b64 s[18:19], vcc, s[18:19]
	s_andn2_b64 exec, exec, s[18:19]
	s_cbranch_execnz .LBB3_513
; %bb.514:                              ;   in Loop: Header=BB3_5 Depth=1
	s_or_b64 exec, exec, s[18:19]
.LBB3_515:                              ;   in Loop: Header=BB3_5 Depth=1
	s_or_b64 exec, exec, s[16:17]
.LBB3_516:                              ;   in Loop: Header=BB3_5 Depth=1
	s_or_b64 exec, exec, s[14:15]
	global_load_dwordx2 v[13:14], v2, s[2:3] offset:40
	global_load_dwordx4 v[7:10], v2, s[2:3]
	v_readfirstlane_b32 s15, v4
	v_readfirstlane_b32 s14, v3
	s_mov_b64 s[16:17], exec
	s_waitcnt vmcnt(1)
	v_readfirstlane_b32 s18, v13
	v_readfirstlane_b32 s19, v14
	s_and_b64 s[18:19], s[18:19], s[14:15]
	s_mul_i32 s20, s19, 24
	s_mul_hi_u32 s21, s18, 24
	s_mul_i32 s22, s18, 24
	s_add_i32 s20, s21, s20
	v_mov_b32_e32 v1, s20
	s_waitcnt vmcnt(0)
	v_add_co_u32_e32 v15, vcc, s22, v7
	v_addc_co_u32_e32 v16, vcc, v8, v1, vcc
	s_and_saveexec_b64 s[20:21], s[0:1]
	s_cbranch_execz .LBB3_518
; %bb.517:                              ;   in Loop: Header=BB3_5 Depth=1
	v_mov_b32_e32 v3, s16
	v_mov_b32_e32 v4, s17
	global_store_dwordx4 v[15:16], v[3:6], off offset:8
.LBB3_518:                              ;   in Loop: Header=BB3_5 Depth=1
	s_or_b64 exec, exec, s[20:21]
	s_lshl_b64 s[16:17], s[18:19], 12
	v_mov_b32_e32 v1, s17
	v_add_co_u32_e32 v17, vcc, s16, v9
	v_addc_co_u32_e32 v18, vcc, v10, v1, vcc
	v_and_or_b32 v11, v11, s29, 32
	v_mov_b32_e32 v13, v2
	v_mov_b32_e32 v14, v2
	v_readfirstlane_b32 s16, v17
	v_readfirstlane_b32 s17, v18
	s_nop 4
	global_store_dwordx4 v38, v[11:14], s[16:17]
	s_nop 0
	v_mov_b32_e32 v12, s11
	v_mov_b32_e32 v11, s10
	;; [unrolled: 1-line block ×4, first 2 shown]
	global_store_dwordx4 v38, v[9:12], s[16:17] offset:16
	global_store_dwordx4 v38, v[9:12], s[16:17] offset:32
	;; [unrolled: 1-line block ×3, first 2 shown]
	s_and_saveexec_b64 s[16:17], s[0:1]
	s_cbranch_execz .LBB3_526
; %bb.519:                              ;   in Loop: Header=BB3_5 Depth=1
	global_load_dwordx2 v[11:12], v2, s[2:3] offset:32 glc
	global_load_dwordx2 v[3:4], v2, s[2:3] offset:40
	v_mov_b32_e32 v9, s14
	v_mov_b32_e32 v10, s15
	s_waitcnt vmcnt(0)
	v_readfirstlane_b32 s18, v3
	v_readfirstlane_b32 s19, v4
	s_and_b64 s[18:19], s[18:19], s[14:15]
	s_mul_i32 s19, s19, 24
	s_mul_hi_u32 s20, s18, 24
	s_mul_i32 s18, s18, 24
	s_add_i32 s19, s20, s19
	v_mov_b32_e32 v1, s19
	v_add_co_u32_e32 v3, vcc, s18, v7
	v_addc_co_u32_e32 v4, vcc, v8, v1, vcc
	global_store_dwordx2 v[3:4], v[11:12], off
	s_waitcnt vmcnt(0)
	global_atomic_cmpswap_x2 v[9:10], v2, v[9:12], s[2:3] offset:32 glc
	s_waitcnt vmcnt(0)
	v_cmp_ne_u64_e32 vcc, v[9:10], v[11:12]
	s_and_saveexec_b64 s[18:19], vcc
	s_cbranch_execz .LBB3_522
; %bb.520:                              ;   in Loop: Header=BB3_5 Depth=1
	s_mov_b64 s[20:21], 0
.LBB3_521:                              ;   Parent Loop BB3_5 Depth=1
                                        ; =>  This Inner Loop Header: Depth=2
	s_sleep 1
	global_store_dwordx2 v[3:4], v[9:10], off
	v_mov_b32_e32 v7, s14
	v_mov_b32_e32 v8, s15
	s_waitcnt vmcnt(0)
	global_atomic_cmpswap_x2 v[7:8], v2, v[7:10], s[2:3] offset:32 glc
	s_waitcnt vmcnt(0)
	v_cmp_eq_u64_e32 vcc, v[7:8], v[9:10]
	v_mov_b32_e32 v10, v8
	s_or_b64 s[20:21], vcc, s[20:21]
	v_mov_b32_e32 v9, v7
	s_andn2_b64 exec, exec, s[20:21]
	s_cbranch_execnz .LBB3_521
.LBB3_522:                              ;   in Loop: Header=BB3_5 Depth=1
	s_or_b64 exec, exec, s[18:19]
	global_load_dwordx2 v[3:4], v2, s[2:3] offset:16
	s_mov_b64 s[20:21], exec
	v_mbcnt_lo_u32_b32 v1, s20, 0
	v_mbcnt_hi_u32_b32 v1, s21, v1
	v_cmp_eq_u32_e32 vcc, 0, v1
	s_and_saveexec_b64 s[18:19], vcc
	s_cbranch_execz .LBB3_524
; %bb.523:                              ;   in Loop: Header=BB3_5 Depth=1
	s_bcnt1_i32_b64 s20, s[20:21]
	v_mov_b32_e32 v1, s20
	s_waitcnt vmcnt(0)
	global_atomic_add_x2 v[3:4], v[1:2], off offset:8
.LBB3_524:                              ;   in Loop: Header=BB3_5 Depth=1
	s_or_b64 exec, exec, s[18:19]
	s_waitcnt vmcnt(0)
	global_load_dwordx2 v[7:8], v[3:4], off offset:16
	s_waitcnt vmcnt(0)
	v_cmp_eq_u64_e32 vcc, 0, v[7:8]
	s_cbranch_vccnz .LBB3_526
; %bb.525:                              ;   in Loop: Header=BB3_5 Depth=1
	global_load_dword v1, v[3:4], off offset:24
	s_waitcnt vmcnt(0)
	v_readfirstlane_b32 s18, v1
	s_and_b32 m0, s18, 0xffffff
	global_store_dwordx2 v[7:8], v[1:2], off
	s_sendmsg sendmsg(MSG_INTERRUPT)
.LBB3_526:                              ;   in Loop: Header=BB3_5 Depth=1
	s_or_b64 exec, exec, s[16:17]
	v_add_co_u32_e32 v3, vcc, v17, v38
	v_addc_co_u32_e32 v4, vcc, 0, v18, vcc
	s_branch .LBB3_530
.LBB3_527:                              ;   in Loop: Header=BB3_530 Depth=2
	s_or_b64 exec, exec, s[16:17]
	v_readfirstlane_b32 s16, v1
	s_cmp_eq_u32 s16, 0
	s_cbranch_scc1 .LBB3_529
; %bb.528:                              ;   in Loop: Header=BB3_530 Depth=2
	s_sleep 1
	s_cbranch_execnz .LBB3_530
	s_branch .LBB3_532
.LBB3_529:                              ;   in Loop: Header=BB3_5 Depth=1
	s_branch .LBB3_532
.LBB3_530:                              ;   Parent Loop BB3_5 Depth=1
                                        ; =>  This Inner Loop Header: Depth=2
	v_mov_b32_e32 v1, 1
	s_and_saveexec_b64 s[16:17], s[0:1]
	s_cbranch_execz .LBB3_527
; %bb.531:                              ;   in Loop: Header=BB3_530 Depth=2
	global_load_dword v1, v[15:16], off offset:20 glc
	s_waitcnt vmcnt(0)
	buffer_wbinvl1_vol
	v_and_b32_e32 v1, 1, v1
	s_branch .LBB3_527
.LBB3_532:                              ;   in Loop: Header=BB3_5 Depth=1
	global_load_dwordx2 v[7:8], v[3:4], off
	s_and_saveexec_b64 s[16:17], s[0:1]
	s_cbranch_execz .LBB3_536
; %bb.533:                              ;   in Loop: Header=BB3_5 Depth=1
	global_load_dwordx2 v[3:4], v2, s[2:3] offset:40
	global_load_dwordx2 v[13:14], v2, s[2:3] offset:24 glc
	global_load_dwordx2 v[9:10], v2, s[2:3]
	s_waitcnt vmcnt(2)
	v_readfirstlane_b32 s18, v3
	v_readfirstlane_b32 s19, v4
	s_add_u32 s20, s18, 1
	s_addc_u32 s21, s19, 0
	s_add_u32 s0, s20, s14
	s_addc_u32 s1, s21, s15
	s_cmp_eq_u64 s[0:1], 0
	s_cselect_b32 s1, s21, s1
	s_cselect_b32 s0, s20, s0
	s_and_b64 s[14:15], s[0:1], s[18:19]
	s_mul_i32 s15, s15, 24
	s_mul_hi_u32 s18, s14, 24
	s_mul_i32 s14, s14, 24
	s_add_i32 s15, s18, s15
	v_mov_b32_e32 v1, s15
	s_waitcnt vmcnt(0)
	v_add_co_u32_e32 v3, vcc, s14, v9
	v_addc_co_u32_e32 v4, vcc, v10, v1, vcc
	v_mov_b32_e32 v11, s0
	global_store_dwordx2 v[3:4], v[13:14], off
	v_mov_b32_e32 v12, s1
	s_waitcnt vmcnt(0)
	global_atomic_cmpswap_x2 v[11:12], v2, v[11:14], s[2:3] offset:24 glc
	s_waitcnt vmcnt(0)
	v_cmp_ne_u64_e32 vcc, v[11:12], v[13:14]
	s_and_b64 exec, exec, vcc
	s_cbranch_execz .LBB3_536
; %bb.534:                              ;   in Loop: Header=BB3_5 Depth=1
	s_mov_b64 s[14:15], 0
.LBB3_535:                              ;   Parent Loop BB3_5 Depth=1
                                        ; =>  This Inner Loop Header: Depth=2
	s_sleep 1
	global_store_dwordx2 v[3:4], v[11:12], off
	v_mov_b32_e32 v9, s0
	v_mov_b32_e32 v10, s1
	s_waitcnt vmcnt(0)
	global_atomic_cmpswap_x2 v[9:10], v2, v[9:12], s[2:3] offset:24 glc
	s_waitcnt vmcnt(0)
	v_cmp_eq_u64_e32 vcc, v[9:10], v[11:12]
	v_mov_b32_e32 v12, v10
	s_or_b64 s[14:15], vcc, s[14:15]
	v_mov_b32_e32 v11, v9
	s_andn2_b64 exec, exec, s[14:15]
	s_cbranch_execnz .LBB3_535
.LBB3_536:                              ;   in Loop: Header=BB3_5 Depth=1
	s_or_b64 exec, exec, s[16:17]
	s_and_b64 vcc, exec, s[12:13]
	s_cbranch_vccnz .LBB3_424
.LBB3_537:                              ;   in Loop: Header=BB3_5 Depth=1
                                        ; implicit-def: $vgpr9_vgpr10
	s_cbranch_execz .LBB3_565
; %bb.538:                              ;   in Loop: Header=BB3_5 Depth=1
	v_readfirstlane_b32 s0, v36
	v_mov_b32_e32 v3, 0
	v_mov_b32_e32 v4, 0
	v_cmp_eq_u32_e64 s[0:1], s0, v36
	s_and_saveexec_b64 s[14:15], s[0:1]
	s_cbranch_execz .LBB3_544
; %bb.539:                              ;   in Loop: Header=BB3_5 Depth=1
	global_load_dwordx2 v[11:12], v2, s[2:3] offset:24 glc
	s_waitcnt vmcnt(0)
	buffer_wbinvl1_vol
	global_load_dwordx2 v[3:4], v2, s[2:3] offset:40
	global_load_dwordx2 v[9:10], v2, s[2:3]
	s_waitcnt vmcnt(1)
	v_and_b32_e32 v1, v3, v11
	v_and_b32_e32 v3, v4, v12
	v_mul_lo_u32 v3, v3, 24
	v_mul_hi_u32 v4, v1, 24
	v_mul_lo_u32 v1, v1, 24
	v_add_u32_e32 v4, v4, v3
	s_waitcnt vmcnt(0)
	v_add_co_u32_e32 v3, vcc, v9, v1
	v_addc_co_u32_e32 v4, vcc, v10, v4, vcc
	global_load_dwordx2 v[9:10], v[3:4], off glc
	s_waitcnt vmcnt(0)
	global_atomic_cmpswap_x2 v[3:4], v2, v[9:12], s[2:3] offset:24 glc
	s_waitcnt vmcnt(0)
	buffer_wbinvl1_vol
	v_cmp_ne_u64_e32 vcc, v[3:4], v[11:12]
	s_and_saveexec_b64 s[16:17], vcc
	s_cbranch_execz .LBB3_543
; %bb.540:                              ;   in Loop: Header=BB3_5 Depth=1
	s_mov_b64 s[18:19], 0
.LBB3_541:                              ;   Parent Loop BB3_5 Depth=1
                                        ; =>  This Inner Loop Header: Depth=2
	s_sleep 1
	global_load_dwordx2 v[9:10], v2, s[2:3] offset:40
	global_load_dwordx2 v[13:14], v2, s[2:3]
	v_mov_b32_e32 v12, v4
	v_mov_b32_e32 v11, v3
	s_waitcnt vmcnt(1)
	v_and_b32_e32 v1, v9, v11
	s_waitcnt vmcnt(0)
	v_mad_u64_u32 v[3:4], s[20:21], v1, 24, v[13:14]
	v_and_b32_e32 v9, v10, v12
	v_mov_b32_e32 v1, v4
	v_mad_u64_u32 v[9:10], s[20:21], v9, 24, v[1:2]
	v_mov_b32_e32 v4, v9
	global_load_dwordx2 v[9:10], v[3:4], off glc
	s_waitcnt vmcnt(0)
	global_atomic_cmpswap_x2 v[3:4], v2, v[9:12], s[2:3] offset:24 glc
	s_waitcnt vmcnt(0)
	buffer_wbinvl1_vol
	v_cmp_eq_u64_e32 vcc, v[3:4], v[11:12]
	s_or_b64 s[18:19], vcc, s[18:19]
	s_andn2_b64 exec, exec, s[18:19]
	s_cbranch_execnz .LBB3_541
; %bb.542:                              ;   in Loop: Header=BB3_5 Depth=1
	s_or_b64 exec, exec, s[18:19]
.LBB3_543:                              ;   in Loop: Header=BB3_5 Depth=1
	s_or_b64 exec, exec, s[16:17]
.LBB3_544:                              ;   in Loop: Header=BB3_5 Depth=1
	s_or_b64 exec, exec, s[14:15]
	global_load_dwordx2 v[9:10], v2, s[2:3] offset:40
	global_load_dwordx4 v[11:14], v2, s[2:3]
	v_readfirstlane_b32 s15, v4
	v_readfirstlane_b32 s14, v3
	s_mov_b64 s[16:17], exec
	s_waitcnt vmcnt(1)
	v_readfirstlane_b32 s18, v9
	v_readfirstlane_b32 s19, v10
	s_and_b64 s[18:19], s[18:19], s[14:15]
	s_mul_i32 s20, s19, 24
	s_mul_hi_u32 s21, s18, 24
	s_mul_i32 s22, s18, 24
	s_add_i32 s20, s21, s20
	v_mov_b32_e32 v1, s20
	s_waitcnt vmcnt(0)
	v_add_co_u32_e32 v15, vcc, s22, v11
	v_addc_co_u32_e32 v16, vcc, v12, v1, vcc
	s_and_saveexec_b64 s[20:21], s[0:1]
	s_cbranch_execz .LBB3_546
; %bb.545:                              ;   in Loop: Header=BB3_5 Depth=1
	v_mov_b32_e32 v3, s16
	v_mov_b32_e32 v4, s17
	global_store_dwordx4 v[15:16], v[3:6], off offset:8
.LBB3_546:                              ;   in Loop: Header=BB3_5 Depth=1
	s_or_b64 exec, exec, s[20:21]
	s_lshl_b64 s[16:17], s[18:19], 12
	v_mov_b32_e32 v1, s17
	v_add_co_u32_e32 v13, vcc, s16, v13
	v_addc_co_u32_e32 v14, vcc, v14, v1, vcc
	v_and_or_b32 v7, v7, s29, 32
	v_mov_b32_e32 v9, v2
	v_mov_b32_e32 v10, v2
	v_readfirstlane_b32 s16, v13
	v_readfirstlane_b32 s17, v14
	s_nop 4
	global_store_dwordx4 v38, v[7:10], s[16:17]
	s_nop 0
	v_mov_b32_e32 v7, s8
	v_mov_b32_e32 v8, s9
	;; [unrolled: 1-line block ×4, first 2 shown]
	global_store_dwordx4 v38, v[7:10], s[16:17] offset:16
	global_store_dwordx4 v38, v[7:10], s[16:17] offset:32
	global_store_dwordx4 v38, v[7:10], s[16:17] offset:48
	s_and_saveexec_b64 s[16:17], s[0:1]
	s_cbranch_execz .LBB3_554
; %bb.547:                              ;   in Loop: Header=BB3_5 Depth=1
	global_load_dwordx2 v[19:20], v2, s[2:3] offset:32 glc
	global_load_dwordx2 v[3:4], v2, s[2:3] offset:40
	v_mov_b32_e32 v17, s14
	v_mov_b32_e32 v18, s15
	s_waitcnt vmcnt(0)
	v_readfirstlane_b32 s18, v3
	v_readfirstlane_b32 s19, v4
	s_and_b64 s[18:19], s[18:19], s[14:15]
	s_mul_i32 s19, s19, 24
	s_mul_hi_u32 s20, s18, 24
	s_mul_i32 s18, s18, 24
	s_add_i32 s19, s20, s19
	v_mov_b32_e32 v1, s19
	v_add_co_u32_e32 v3, vcc, s18, v11
	v_addc_co_u32_e32 v4, vcc, v12, v1, vcc
	global_store_dwordx2 v[3:4], v[19:20], off
	s_waitcnt vmcnt(0)
	global_atomic_cmpswap_x2 v[9:10], v2, v[17:20], s[2:3] offset:32 glc
	s_waitcnt vmcnt(0)
	v_cmp_ne_u64_e32 vcc, v[9:10], v[19:20]
	s_and_saveexec_b64 s[18:19], vcc
	s_cbranch_execz .LBB3_550
; %bb.548:                              ;   in Loop: Header=BB3_5 Depth=1
	s_mov_b64 s[20:21], 0
.LBB3_549:                              ;   Parent Loop BB3_5 Depth=1
                                        ; =>  This Inner Loop Header: Depth=2
	s_sleep 1
	global_store_dwordx2 v[3:4], v[9:10], off
	v_mov_b32_e32 v7, s14
	v_mov_b32_e32 v8, s15
	s_waitcnt vmcnt(0)
	global_atomic_cmpswap_x2 v[7:8], v2, v[7:10], s[2:3] offset:32 glc
	s_waitcnt vmcnt(0)
	v_cmp_eq_u64_e32 vcc, v[7:8], v[9:10]
	v_mov_b32_e32 v10, v8
	s_or_b64 s[20:21], vcc, s[20:21]
	v_mov_b32_e32 v9, v7
	s_andn2_b64 exec, exec, s[20:21]
	s_cbranch_execnz .LBB3_549
.LBB3_550:                              ;   in Loop: Header=BB3_5 Depth=1
	s_or_b64 exec, exec, s[18:19]
	global_load_dwordx2 v[3:4], v2, s[2:3] offset:16
	s_mov_b64 s[20:21], exec
	v_mbcnt_lo_u32_b32 v1, s20, 0
	v_mbcnt_hi_u32_b32 v1, s21, v1
	v_cmp_eq_u32_e32 vcc, 0, v1
	s_and_saveexec_b64 s[18:19], vcc
	s_cbranch_execz .LBB3_552
; %bb.551:                              ;   in Loop: Header=BB3_5 Depth=1
	s_bcnt1_i32_b64 s20, s[20:21]
	v_mov_b32_e32 v1, s20
	s_waitcnt vmcnt(0)
	global_atomic_add_x2 v[3:4], v[1:2], off offset:8
.LBB3_552:                              ;   in Loop: Header=BB3_5 Depth=1
	s_or_b64 exec, exec, s[18:19]
	s_waitcnt vmcnt(0)
	global_load_dwordx2 v[7:8], v[3:4], off offset:16
	s_waitcnt vmcnt(0)
	v_cmp_eq_u64_e32 vcc, 0, v[7:8]
	s_cbranch_vccnz .LBB3_554
; %bb.553:                              ;   in Loop: Header=BB3_5 Depth=1
	global_load_dword v1, v[3:4], off offset:24
	s_waitcnt vmcnt(0)
	v_readfirstlane_b32 s18, v1
	s_and_b32 m0, s18, 0xffffff
	global_store_dwordx2 v[7:8], v[1:2], off
	s_sendmsg sendmsg(MSG_INTERRUPT)
.LBB3_554:                              ;   in Loop: Header=BB3_5 Depth=1
	s_or_b64 exec, exec, s[16:17]
	v_add_co_u32_e32 v3, vcc, v13, v38
	v_addc_co_u32_e32 v4, vcc, 0, v14, vcc
	s_branch .LBB3_558
.LBB3_555:                              ;   in Loop: Header=BB3_558 Depth=2
	s_or_b64 exec, exec, s[16:17]
	v_readfirstlane_b32 s16, v1
	s_cmp_eq_u32 s16, 0
	s_cbranch_scc1 .LBB3_557
; %bb.556:                              ;   in Loop: Header=BB3_558 Depth=2
	s_sleep 1
	s_cbranch_execnz .LBB3_558
	s_branch .LBB3_560
.LBB3_557:                              ;   in Loop: Header=BB3_5 Depth=1
	s_branch .LBB3_560
.LBB3_558:                              ;   Parent Loop BB3_5 Depth=1
                                        ; =>  This Inner Loop Header: Depth=2
	v_mov_b32_e32 v1, 1
	s_and_saveexec_b64 s[16:17], s[0:1]
	s_cbranch_execz .LBB3_555
; %bb.559:                              ;   in Loop: Header=BB3_558 Depth=2
	global_load_dword v1, v[15:16], off offset:20 glc
	s_waitcnt vmcnt(0)
	buffer_wbinvl1_vol
	v_and_b32_e32 v1, 1, v1
	s_branch .LBB3_555
.LBB3_560:                              ;   in Loop: Header=BB3_5 Depth=1
	global_load_dwordx2 v[9:10], v[3:4], off
	s_and_saveexec_b64 s[16:17], s[0:1]
	s_cbranch_execz .LBB3_564
; %bb.561:                              ;   in Loop: Header=BB3_5 Depth=1
	global_load_dwordx2 v[3:4], v2, s[2:3] offset:40
	global_load_dwordx2 v[15:16], v2, s[2:3] offset:24 glc
	global_load_dwordx2 v[7:8], v2, s[2:3]
	s_waitcnt vmcnt(2)
	v_readfirstlane_b32 s18, v3
	v_readfirstlane_b32 s19, v4
	s_add_u32 s20, s18, 1
	s_addc_u32 s21, s19, 0
	s_add_u32 s0, s20, s14
	s_addc_u32 s1, s21, s15
	s_cmp_eq_u64 s[0:1], 0
	s_cselect_b32 s1, s21, s1
	s_cselect_b32 s0, s20, s0
	s_and_b64 s[14:15], s[0:1], s[18:19]
	s_mul_i32 s15, s15, 24
	s_mul_hi_u32 s18, s14, 24
	s_mul_i32 s14, s14, 24
	s_add_i32 s15, s18, s15
	v_mov_b32_e32 v1, s15
	s_waitcnt vmcnt(0)
	v_add_co_u32_e32 v3, vcc, s14, v7
	v_addc_co_u32_e32 v4, vcc, v8, v1, vcc
	v_mov_b32_e32 v13, s0
	global_store_dwordx2 v[3:4], v[15:16], off
	v_mov_b32_e32 v14, s1
	s_waitcnt vmcnt(0)
	global_atomic_cmpswap_x2 v[13:14], v2, v[13:16], s[2:3] offset:24 glc
	s_waitcnt vmcnt(0)
	v_cmp_ne_u64_e32 vcc, v[13:14], v[15:16]
	s_and_b64 exec, exec, vcc
	s_cbranch_execz .LBB3_564
; %bb.562:                              ;   in Loop: Header=BB3_5 Depth=1
	s_mov_b64 s[14:15], 0
.LBB3_563:                              ;   Parent Loop BB3_5 Depth=1
                                        ; =>  This Inner Loop Header: Depth=2
	s_sleep 1
	global_store_dwordx2 v[3:4], v[13:14], off
	v_mov_b32_e32 v11, s0
	v_mov_b32_e32 v12, s1
	s_waitcnt vmcnt(0)
	global_atomic_cmpswap_x2 v[7:8], v2, v[11:14], s[2:3] offset:24 glc
	s_waitcnt vmcnt(0)
	v_cmp_eq_u64_e32 vcc, v[7:8], v[13:14]
	v_mov_b32_e32 v14, v8
	s_or_b64 s[14:15], vcc, s[14:15]
	v_mov_b32_e32 v13, v7
	s_andn2_b64 exec, exec, s[14:15]
	s_cbranch_execnz .LBB3_563
.LBB3_564:                              ;   in Loop: Header=BB3_5 Depth=1
	s_or_b64 exec, exec, s[16:17]
.LBB3_565:                              ;   in Loop: Header=BB3_5 Depth=1
	v_readfirstlane_b32 s0, v36
	v_mov_b32_e32 v3, 0
	v_mov_b32_e32 v4, 0
	v_cmp_eq_u32_e64 s[0:1], s0, v36
	s_and_saveexec_b64 s[14:15], s[0:1]
	s_cbranch_execz .LBB3_571
; %bb.566:                              ;   in Loop: Header=BB3_5 Depth=1
	global_load_dwordx2 v[13:14], v2, s[2:3] offset:24 glc
	s_waitcnt vmcnt(0)
	buffer_wbinvl1_vol
	global_load_dwordx2 v[3:4], v2, s[2:3] offset:40
	global_load_dwordx2 v[7:8], v2, s[2:3]
	s_waitcnt vmcnt(1)
	v_and_b32_e32 v1, v3, v13
	v_and_b32_e32 v3, v4, v14
	v_mul_lo_u32 v3, v3, 24
	v_mul_hi_u32 v4, v1, 24
	v_mul_lo_u32 v1, v1, 24
	v_add_u32_e32 v4, v4, v3
	s_waitcnt vmcnt(0)
	v_add_co_u32_e32 v3, vcc, v7, v1
	v_addc_co_u32_e32 v4, vcc, v8, v4, vcc
	global_load_dwordx2 v[11:12], v[3:4], off glc
	s_waitcnt vmcnt(0)
	global_atomic_cmpswap_x2 v[3:4], v2, v[11:14], s[2:3] offset:24 glc
	s_waitcnt vmcnt(0)
	buffer_wbinvl1_vol
	v_cmp_ne_u64_e32 vcc, v[3:4], v[13:14]
	s_and_saveexec_b64 s[16:17], vcc
	s_cbranch_execz .LBB3_570
; %bb.567:                              ;   in Loop: Header=BB3_5 Depth=1
	s_mov_b64 s[18:19], 0
.LBB3_568:                              ;   Parent Loop BB3_5 Depth=1
                                        ; =>  This Inner Loop Header: Depth=2
	s_sleep 1
	global_load_dwordx2 v[7:8], v2, s[2:3] offset:40
	global_load_dwordx2 v[11:12], v2, s[2:3]
	v_mov_b32_e32 v14, v4
	v_mov_b32_e32 v13, v3
	s_waitcnt vmcnt(1)
	v_and_b32_e32 v1, v7, v13
	s_waitcnt vmcnt(0)
	v_mad_u64_u32 v[3:4], s[20:21], v1, 24, v[11:12]
	v_and_b32_e32 v7, v8, v14
	v_mov_b32_e32 v1, v4
	v_mad_u64_u32 v[7:8], s[20:21], v7, 24, v[1:2]
	v_mov_b32_e32 v4, v7
	global_load_dwordx2 v[11:12], v[3:4], off glc
	s_waitcnt vmcnt(0)
	global_atomic_cmpswap_x2 v[3:4], v2, v[11:14], s[2:3] offset:24 glc
	s_waitcnt vmcnt(0)
	buffer_wbinvl1_vol
	v_cmp_eq_u64_e32 vcc, v[3:4], v[13:14]
	s_or_b64 s[18:19], vcc, s[18:19]
	s_andn2_b64 exec, exec, s[18:19]
	s_cbranch_execnz .LBB3_568
; %bb.569:                              ;   in Loop: Header=BB3_5 Depth=1
	s_or_b64 exec, exec, s[18:19]
.LBB3_570:                              ;   in Loop: Header=BB3_5 Depth=1
	s_or_b64 exec, exec, s[16:17]
.LBB3_571:                              ;   in Loop: Header=BB3_5 Depth=1
	s_or_b64 exec, exec, s[14:15]
	global_load_dwordx2 v[7:8], v2, s[2:3] offset:40
	global_load_dwordx4 v[13:16], v2, s[2:3]
	v_readfirstlane_b32 s15, v4
	v_readfirstlane_b32 s14, v3
	s_mov_b64 s[16:17], exec
	s_waitcnt vmcnt(1)
	v_readfirstlane_b32 s18, v7
	v_readfirstlane_b32 s19, v8
	s_and_b64 s[18:19], s[18:19], s[14:15]
	s_mul_i32 s20, s19, 24
	s_mul_hi_u32 s21, s18, 24
	s_mul_i32 s22, s18, 24
	s_add_i32 s20, s21, s20
	v_mov_b32_e32 v1, s20
	s_waitcnt vmcnt(0)
	v_add_co_u32_e32 v17, vcc, s22, v13
	v_addc_co_u32_e32 v18, vcc, v14, v1, vcc
	s_and_saveexec_b64 s[20:21], s[0:1]
	s_cbranch_execz .LBB3_573
; %bb.572:                              ;   in Loop: Header=BB3_5 Depth=1
	v_mov_b32_e32 v3, s16
	v_mov_b32_e32 v4, s17
	global_store_dwordx4 v[17:18], v[3:6], off offset:8
.LBB3_573:                              ;   in Loop: Header=BB3_5 Depth=1
	s_or_b64 exec, exec, s[20:21]
	s_lshl_b64 s[16:17], s[18:19], 12
	v_mov_b32_e32 v1, s17
	v_add_co_u32_e32 v15, vcc, s16, v15
	v_addc_co_u32_e32 v16, vcc, v16, v1, vcc
	v_and_or_b32 v9, v9, s29, 32
	v_mov_b32_e32 v11, v29
	v_mov_b32_e32 v12, v30
	v_readfirstlane_b32 s16, v15
	v_readfirstlane_b32 s17, v16
	s_nop 4
	global_store_dwordx4 v38, v[9:12], s[16:17]
	v_mov_b32_e32 v7, s8
	v_mov_b32_e32 v8, s9
	;; [unrolled: 1-line block ×4, first 2 shown]
	global_store_dwordx4 v38, v[7:10], s[16:17] offset:16
	global_store_dwordx4 v38, v[7:10], s[16:17] offset:32
	;; [unrolled: 1-line block ×3, first 2 shown]
	s_and_saveexec_b64 s[16:17], s[0:1]
	s_cbranch_execz .LBB3_581
; %bb.574:                              ;   in Loop: Header=BB3_5 Depth=1
	global_load_dwordx2 v[11:12], v2, s[2:3] offset:32 glc
	global_load_dwordx2 v[3:4], v2, s[2:3] offset:40
	v_mov_b32_e32 v9, s14
	v_mov_b32_e32 v10, s15
	s_waitcnt vmcnt(0)
	v_readfirstlane_b32 s18, v3
	v_readfirstlane_b32 s19, v4
	s_and_b64 s[18:19], s[18:19], s[14:15]
	s_mul_i32 s19, s19, 24
	s_mul_hi_u32 s20, s18, 24
	s_mul_i32 s18, s18, 24
	s_add_i32 s19, s20, s19
	v_mov_b32_e32 v1, s19
	v_add_co_u32_e32 v3, vcc, s18, v13
	v_addc_co_u32_e32 v4, vcc, v14, v1, vcc
	global_store_dwordx2 v[3:4], v[11:12], off
	s_waitcnt vmcnt(0)
	global_atomic_cmpswap_x2 v[9:10], v2, v[9:12], s[2:3] offset:32 glc
	s_waitcnt vmcnt(0)
	v_cmp_ne_u64_e32 vcc, v[9:10], v[11:12]
	s_and_saveexec_b64 s[18:19], vcc
	s_cbranch_execz .LBB3_577
; %bb.575:                              ;   in Loop: Header=BB3_5 Depth=1
	s_mov_b64 s[20:21], 0
.LBB3_576:                              ;   Parent Loop BB3_5 Depth=1
                                        ; =>  This Inner Loop Header: Depth=2
	s_sleep 1
	global_store_dwordx2 v[3:4], v[9:10], off
	v_mov_b32_e32 v7, s14
	v_mov_b32_e32 v8, s15
	s_waitcnt vmcnt(0)
	global_atomic_cmpswap_x2 v[7:8], v2, v[7:10], s[2:3] offset:32 glc
	s_waitcnt vmcnt(0)
	v_cmp_eq_u64_e32 vcc, v[7:8], v[9:10]
	v_mov_b32_e32 v10, v8
	s_or_b64 s[20:21], vcc, s[20:21]
	v_mov_b32_e32 v9, v7
	s_andn2_b64 exec, exec, s[20:21]
	s_cbranch_execnz .LBB3_576
.LBB3_577:                              ;   in Loop: Header=BB3_5 Depth=1
	s_or_b64 exec, exec, s[18:19]
	global_load_dwordx2 v[3:4], v2, s[2:3] offset:16
	s_mov_b64 s[20:21], exec
	v_mbcnt_lo_u32_b32 v1, s20, 0
	v_mbcnt_hi_u32_b32 v1, s21, v1
	v_cmp_eq_u32_e32 vcc, 0, v1
	s_and_saveexec_b64 s[18:19], vcc
	s_cbranch_execz .LBB3_579
; %bb.578:                              ;   in Loop: Header=BB3_5 Depth=1
	s_bcnt1_i32_b64 s20, s[20:21]
	v_mov_b32_e32 v1, s20
	s_waitcnt vmcnt(0)
	global_atomic_add_x2 v[3:4], v[1:2], off offset:8
.LBB3_579:                              ;   in Loop: Header=BB3_5 Depth=1
	s_or_b64 exec, exec, s[18:19]
	s_waitcnt vmcnt(0)
	global_load_dwordx2 v[7:8], v[3:4], off offset:16
	s_waitcnt vmcnt(0)
	v_cmp_eq_u64_e32 vcc, 0, v[7:8]
	s_cbranch_vccnz .LBB3_581
; %bb.580:                              ;   in Loop: Header=BB3_5 Depth=1
	global_load_dword v1, v[3:4], off offset:24
	s_waitcnt vmcnt(0)
	v_readfirstlane_b32 s18, v1
	s_and_b32 m0, s18, 0xffffff
	global_store_dwordx2 v[7:8], v[1:2], off
	s_sendmsg sendmsg(MSG_INTERRUPT)
.LBB3_581:                              ;   in Loop: Header=BB3_5 Depth=1
	s_or_b64 exec, exec, s[16:17]
	v_add_co_u32_e32 v3, vcc, v15, v38
	v_addc_co_u32_e32 v4, vcc, 0, v16, vcc
	s_branch .LBB3_585
.LBB3_582:                              ;   in Loop: Header=BB3_585 Depth=2
	s_or_b64 exec, exec, s[16:17]
	v_readfirstlane_b32 s16, v1
	s_cmp_eq_u32 s16, 0
	s_cbranch_scc1 .LBB3_584
; %bb.583:                              ;   in Loop: Header=BB3_585 Depth=2
	s_sleep 1
	s_cbranch_execnz .LBB3_585
	s_branch .LBB3_587
.LBB3_584:                              ;   in Loop: Header=BB3_5 Depth=1
	s_branch .LBB3_587
.LBB3_585:                              ;   Parent Loop BB3_5 Depth=1
                                        ; =>  This Inner Loop Header: Depth=2
	v_mov_b32_e32 v1, 1
	s_and_saveexec_b64 s[16:17], s[0:1]
	s_cbranch_execz .LBB3_582
; %bb.586:                              ;   in Loop: Header=BB3_585 Depth=2
	global_load_dword v1, v[17:18], off offset:20 glc
	s_waitcnt vmcnt(0)
	buffer_wbinvl1_vol
	v_and_b32_e32 v1, 1, v1
	s_branch .LBB3_582
.LBB3_587:                              ;   in Loop: Header=BB3_5 Depth=1
	global_load_dwordx2 v[7:8], v[3:4], off
	s_and_saveexec_b64 s[16:17], s[0:1]
	s_cbranch_execz .LBB3_591
; %bb.588:                              ;   in Loop: Header=BB3_5 Depth=1
	global_load_dwordx2 v[3:4], v2, s[2:3] offset:40
	global_load_dwordx2 v[13:14], v2, s[2:3] offset:24 glc
	global_load_dwordx2 v[9:10], v2, s[2:3]
	s_waitcnt vmcnt(2)
	v_readfirstlane_b32 s18, v3
	v_readfirstlane_b32 s19, v4
	s_add_u32 s20, s18, 1
	s_addc_u32 s21, s19, 0
	s_add_u32 s0, s20, s14
	s_addc_u32 s1, s21, s15
	s_cmp_eq_u64 s[0:1], 0
	s_cselect_b32 s1, s21, s1
	s_cselect_b32 s0, s20, s0
	s_and_b64 s[14:15], s[0:1], s[18:19]
	s_mul_i32 s15, s15, 24
	s_mul_hi_u32 s18, s14, 24
	s_mul_i32 s14, s14, 24
	s_add_i32 s15, s18, s15
	v_mov_b32_e32 v1, s15
	s_waitcnt vmcnt(0)
	v_add_co_u32_e32 v3, vcc, s14, v9
	v_addc_co_u32_e32 v4, vcc, v10, v1, vcc
	v_mov_b32_e32 v11, s0
	global_store_dwordx2 v[3:4], v[13:14], off
	v_mov_b32_e32 v12, s1
	s_waitcnt vmcnt(0)
	global_atomic_cmpswap_x2 v[11:12], v2, v[11:14], s[2:3] offset:24 glc
	s_waitcnt vmcnt(0)
	v_cmp_ne_u64_e32 vcc, v[11:12], v[13:14]
	s_and_b64 exec, exec, vcc
	s_cbranch_execz .LBB3_591
; %bb.589:                              ;   in Loop: Header=BB3_5 Depth=1
	s_mov_b64 s[14:15], 0
.LBB3_590:                              ;   Parent Loop BB3_5 Depth=1
                                        ; =>  This Inner Loop Header: Depth=2
	s_sleep 1
	global_store_dwordx2 v[3:4], v[11:12], off
	v_mov_b32_e32 v9, s0
	v_mov_b32_e32 v10, s1
	s_waitcnt vmcnt(0)
	global_atomic_cmpswap_x2 v[9:10], v2, v[9:12], s[2:3] offset:24 glc
	s_waitcnt vmcnt(0)
	v_cmp_eq_u64_e32 vcc, v[9:10], v[11:12]
	v_mov_b32_e32 v12, v10
	s_or_b64 s[14:15], vcc, s[14:15]
	v_mov_b32_e32 v11, v9
	s_andn2_b64 exec, exec, s[14:15]
	s_cbranch_execnz .LBB3_590
.LBB3_591:                              ;   in Loop: Header=BB3_5 Depth=1
	s_or_b64 exec, exec, s[16:17]
	v_readfirstlane_b32 s0, v36
	v_mov_b32_e32 v3, 0
	v_mov_b32_e32 v4, 0
	v_cmp_eq_u32_e64 s[0:1], s0, v36
	s_and_saveexec_b64 s[14:15], s[0:1]
	s_cbranch_execz .LBB3_597
; %bb.592:                              ;   in Loop: Header=BB3_5 Depth=1
	global_load_dwordx2 v[11:12], v2, s[2:3] offset:24 glc
	s_waitcnt vmcnt(0)
	buffer_wbinvl1_vol
	global_load_dwordx2 v[3:4], v2, s[2:3] offset:40
	global_load_dwordx2 v[9:10], v2, s[2:3]
	s_waitcnt vmcnt(1)
	v_and_b32_e32 v1, v3, v11
	v_and_b32_e32 v3, v4, v12
	v_mul_lo_u32 v3, v3, 24
	v_mul_hi_u32 v4, v1, 24
	v_mul_lo_u32 v1, v1, 24
	v_add_u32_e32 v4, v4, v3
	s_waitcnt vmcnt(0)
	v_add_co_u32_e32 v3, vcc, v9, v1
	v_addc_co_u32_e32 v4, vcc, v10, v4, vcc
	global_load_dwordx2 v[9:10], v[3:4], off glc
	s_waitcnt vmcnt(0)
	global_atomic_cmpswap_x2 v[3:4], v2, v[9:12], s[2:3] offset:24 glc
	s_waitcnt vmcnt(0)
	buffer_wbinvl1_vol
	v_cmp_ne_u64_e32 vcc, v[3:4], v[11:12]
	s_and_saveexec_b64 s[16:17], vcc
	s_cbranch_execz .LBB3_596
; %bb.593:                              ;   in Loop: Header=BB3_5 Depth=1
	s_mov_b64 s[18:19], 0
.LBB3_594:                              ;   Parent Loop BB3_5 Depth=1
                                        ; =>  This Inner Loop Header: Depth=2
	s_sleep 1
	global_load_dwordx2 v[9:10], v2, s[2:3] offset:40
	global_load_dwordx2 v[13:14], v2, s[2:3]
	v_mov_b32_e32 v12, v4
	v_mov_b32_e32 v11, v3
	s_waitcnt vmcnt(1)
	v_and_b32_e32 v1, v9, v11
	s_waitcnt vmcnt(0)
	v_mad_u64_u32 v[3:4], s[20:21], v1, 24, v[13:14]
	v_and_b32_e32 v9, v10, v12
	v_mov_b32_e32 v1, v4
	v_mad_u64_u32 v[9:10], s[20:21], v9, 24, v[1:2]
	v_mov_b32_e32 v4, v9
	global_load_dwordx2 v[9:10], v[3:4], off glc
	s_waitcnt vmcnt(0)
	global_atomic_cmpswap_x2 v[3:4], v2, v[9:12], s[2:3] offset:24 glc
	s_waitcnt vmcnt(0)
	buffer_wbinvl1_vol
	v_cmp_eq_u64_e32 vcc, v[3:4], v[11:12]
	s_or_b64 s[18:19], vcc, s[18:19]
	s_andn2_b64 exec, exec, s[18:19]
	s_cbranch_execnz .LBB3_594
; %bb.595:                              ;   in Loop: Header=BB3_5 Depth=1
	s_or_b64 exec, exec, s[18:19]
.LBB3_596:                              ;   in Loop: Header=BB3_5 Depth=1
	s_or_b64 exec, exec, s[16:17]
.LBB3_597:                              ;   in Loop: Header=BB3_5 Depth=1
	s_or_b64 exec, exec, s[14:15]
	global_load_dwordx2 v[9:10], v2, s[2:3] offset:40
	global_load_dwordx4 v[11:14], v2, s[2:3]
	v_readfirstlane_b32 s15, v4
	v_readfirstlane_b32 s14, v3
	s_mov_b64 s[16:17], exec
	s_waitcnt vmcnt(1)
	v_readfirstlane_b32 s18, v9
	v_readfirstlane_b32 s19, v10
	s_and_b64 s[18:19], s[18:19], s[14:15]
	s_mul_i32 s20, s19, 24
	s_mul_hi_u32 s21, s18, 24
	s_mul_i32 s22, s18, 24
	s_add_i32 s20, s21, s20
	v_mov_b32_e32 v1, s20
	s_waitcnt vmcnt(0)
	v_add_co_u32_e32 v15, vcc, s22, v11
	v_addc_co_u32_e32 v16, vcc, v12, v1, vcc
	s_and_saveexec_b64 s[20:21], s[0:1]
	s_cbranch_execz .LBB3_599
; %bb.598:                              ;   in Loop: Header=BB3_5 Depth=1
	v_mov_b32_e32 v3, s16
	v_mov_b32_e32 v4, s17
	global_store_dwordx4 v[15:16], v[3:6], off offset:8
.LBB3_599:                              ;   in Loop: Header=BB3_5 Depth=1
	s_or_b64 exec, exec, s[20:21]
	s_lshl_b64 s[16:17], s[18:19], 12
	v_mov_b32_e32 v1, s17
	v_add_co_u32_e32 v13, vcc, s16, v13
	v_addc_co_u32_e32 v14, vcc, v14, v1, vcc
	s_mul_i32 s16, s31, 10
	v_and_or_b32 v7, v7, s30, 34
	v_mov_b32_e32 v9, s16
	v_mov_b32_e32 v10, v2
	v_readfirstlane_b32 s16, v13
	v_readfirstlane_b32 s17, v14
	s_nop 4
	global_store_dwordx4 v38, v[7:10], s[16:17]
	s_nop 0
	v_mov_b32_e32 v7, s8
	v_mov_b32_e32 v8, s9
	;; [unrolled: 1-line block ×4, first 2 shown]
	global_store_dwordx4 v38, v[7:10], s[16:17] offset:16
	global_store_dwordx4 v38, v[7:10], s[16:17] offset:32
	;; [unrolled: 1-line block ×3, first 2 shown]
	s_and_saveexec_b64 s[16:17], s[0:1]
	s_cbranch_execz .LBB3_607
; %bb.600:                              ;   in Loop: Header=BB3_5 Depth=1
	global_load_dwordx2 v[19:20], v2, s[2:3] offset:32 glc
	global_load_dwordx2 v[3:4], v2, s[2:3] offset:40
	v_mov_b32_e32 v17, s14
	v_mov_b32_e32 v18, s15
	s_waitcnt vmcnt(0)
	v_readfirstlane_b32 s18, v3
	v_readfirstlane_b32 s19, v4
	s_and_b64 s[18:19], s[18:19], s[14:15]
	s_mul_i32 s19, s19, 24
	s_mul_hi_u32 s20, s18, 24
	s_mul_i32 s18, s18, 24
	s_add_i32 s19, s20, s19
	v_mov_b32_e32 v1, s19
	v_add_co_u32_e32 v3, vcc, s18, v11
	v_addc_co_u32_e32 v4, vcc, v12, v1, vcc
	global_store_dwordx2 v[3:4], v[19:20], off
	s_waitcnt vmcnt(0)
	global_atomic_cmpswap_x2 v[9:10], v2, v[17:20], s[2:3] offset:32 glc
	s_waitcnt vmcnt(0)
	v_cmp_ne_u64_e32 vcc, v[9:10], v[19:20]
	s_and_saveexec_b64 s[18:19], vcc
	s_cbranch_execz .LBB3_603
; %bb.601:                              ;   in Loop: Header=BB3_5 Depth=1
	s_mov_b64 s[20:21], 0
.LBB3_602:                              ;   Parent Loop BB3_5 Depth=1
                                        ; =>  This Inner Loop Header: Depth=2
	s_sleep 1
	global_store_dwordx2 v[3:4], v[9:10], off
	v_mov_b32_e32 v7, s14
	v_mov_b32_e32 v8, s15
	s_waitcnt vmcnt(0)
	global_atomic_cmpswap_x2 v[7:8], v2, v[7:10], s[2:3] offset:32 glc
	s_waitcnt vmcnt(0)
	v_cmp_eq_u64_e32 vcc, v[7:8], v[9:10]
	v_mov_b32_e32 v10, v8
	s_or_b64 s[20:21], vcc, s[20:21]
	v_mov_b32_e32 v9, v7
	s_andn2_b64 exec, exec, s[20:21]
	s_cbranch_execnz .LBB3_602
.LBB3_603:                              ;   in Loop: Header=BB3_5 Depth=1
	s_or_b64 exec, exec, s[18:19]
	global_load_dwordx2 v[3:4], v2, s[2:3] offset:16
	s_mov_b64 s[20:21], exec
	v_mbcnt_lo_u32_b32 v1, s20, 0
	v_mbcnt_hi_u32_b32 v1, s21, v1
	v_cmp_eq_u32_e32 vcc, 0, v1
	s_and_saveexec_b64 s[18:19], vcc
	s_cbranch_execz .LBB3_605
; %bb.604:                              ;   in Loop: Header=BB3_5 Depth=1
	s_bcnt1_i32_b64 s20, s[20:21]
	v_mov_b32_e32 v1, s20
	s_waitcnt vmcnt(0)
	global_atomic_add_x2 v[3:4], v[1:2], off offset:8
.LBB3_605:                              ;   in Loop: Header=BB3_5 Depth=1
	s_or_b64 exec, exec, s[18:19]
	s_waitcnt vmcnt(0)
	global_load_dwordx2 v[7:8], v[3:4], off offset:16
	s_waitcnt vmcnt(0)
	v_cmp_eq_u64_e32 vcc, 0, v[7:8]
	s_cbranch_vccnz .LBB3_607
; %bb.606:                              ;   in Loop: Header=BB3_5 Depth=1
	global_load_dword v1, v[3:4], off offset:24
	s_waitcnt vmcnt(0)
	v_readfirstlane_b32 s18, v1
	s_and_b32 m0, s18, 0xffffff
	global_store_dwordx2 v[7:8], v[1:2], off
	s_sendmsg sendmsg(MSG_INTERRUPT)
.LBB3_607:                              ;   in Loop: Header=BB3_5 Depth=1
	s_or_b64 exec, exec, s[16:17]
	v_add_co_u32_e32 v3, vcc, v13, v38
	v_addc_co_u32_e32 v4, vcc, 0, v14, vcc
	s_branch .LBB3_611
.LBB3_608:                              ;   in Loop: Header=BB3_611 Depth=2
	s_or_b64 exec, exec, s[16:17]
	v_readfirstlane_b32 s16, v1
	s_cmp_eq_u32 s16, 0
	s_cbranch_scc1 .LBB3_610
; %bb.609:                              ;   in Loop: Header=BB3_611 Depth=2
	s_sleep 1
	s_cbranch_execnz .LBB3_611
	s_branch .LBB3_613
.LBB3_610:                              ;   in Loop: Header=BB3_5 Depth=1
	s_branch .LBB3_613
.LBB3_611:                              ;   Parent Loop BB3_5 Depth=1
                                        ; =>  This Inner Loop Header: Depth=2
	v_mov_b32_e32 v1, 1
	s_and_saveexec_b64 s[16:17], s[0:1]
	s_cbranch_execz .LBB3_608
; %bb.612:                              ;   in Loop: Header=BB3_611 Depth=2
	global_load_dword v1, v[15:16], off offset:20 glc
	s_waitcnt vmcnt(0)
	buffer_wbinvl1_vol
	v_and_b32_e32 v1, 1, v1
	s_branch .LBB3_608
.LBB3_613:                              ;   in Loop: Header=BB3_5 Depth=1
	global_load_dwordx2 v[32:33], v[3:4], off
	s_and_saveexec_b64 s[16:17], s[0:1]
	s_cbranch_execz .LBB3_617
; %bb.614:                              ;   in Loop: Header=BB3_5 Depth=1
	global_load_dwordx2 v[3:4], v2, s[2:3] offset:40
	global_load_dwordx2 v[11:12], v2, s[2:3] offset:24 glc
	global_load_dwordx2 v[7:8], v2, s[2:3]
	s_waitcnt vmcnt(2)
	v_readfirstlane_b32 s18, v3
	v_readfirstlane_b32 s19, v4
	s_add_u32 s20, s18, 1
	s_addc_u32 s21, s19, 0
	s_add_u32 s0, s20, s14
	s_addc_u32 s1, s21, s15
	s_cmp_eq_u64 s[0:1], 0
	s_cselect_b32 s1, s21, s1
	s_cselect_b32 s0, s20, s0
	s_and_b64 s[14:15], s[0:1], s[18:19]
	s_mul_i32 s15, s15, 24
	s_mul_hi_u32 s18, s14, 24
	s_mul_i32 s14, s14, 24
	s_add_i32 s15, s18, s15
	v_mov_b32_e32 v1, s15
	s_waitcnt vmcnt(0)
	v_add_co_u32_e32 v3, vcc, s14, v7
	v_addc_co_u32_e32 v4, vcc, v8, v1, vcc
	v_mov_b32_e32 v9, s0
	global_store_dwordx2 v[3:4], v[11:12], off
	v_mov_b32_e32 v10, s1
	s_waitcnt vmcnt(0)
	global_atomic_cmpswap_x2 v[9:10], v2, v[9:12], s[2:3] offset:24 glc
	s_waitcnt vmcnt(0)
	v_cmp_ne_u64_e32 vcc, v[9:10], v[11:12]
	s_and_b64 exec, exec, vcc
	s_cbranch_execz .LBB3_617
; %bb.615:                              ;   in Loop: Header=BB3_5 Depth=1
	s_mov_b64 s[14:15], 0
.LBB3_616:                              ;   Parent Loop BB3_5 Depth=1
                                        ; =>  This Inner Loop Header: Depth=2
	s_sleep 1
	global_store_dwordx2 v[3:4], v[9:10], off
	v_mov_b32_e32 v7, s0
	v_mov_b32_e32 v8, s1
	s_waitcnt vmcnt(0)
	global_atomic_cmpswap_x2 v[7:8], v2, v[7:10], s[2:3] offset:24 glc
	s_waitcnt vmcnt(0)
	v_cmp_eq_u64_e32 vcc, v[7:8], v[9:10]
	v_mov_b32_e32 v10, v8
	s_or_b64 s[14:15], vcc, s[14:15]
	v_mov_b32_e32 v9, v7
	s_andn2_b64 exec, exec, s[14:15]
	s_cbranch_execnz .LBB3_616
.LBB3_617:                              ;   in Loop: Header=BB3_5 Depth=1
	s_or_b64 exec, exec, s[16:17]
	v_readfirstlane_b32 s0, v36
	v_mov_b32_e32 v3, 0
	v_mov_b32_e32 v4, 0
	v_cmp_eq_u32_e64 s[0:1], s0, v36
	s_and_saveexec_b64 s[14:15], s[0:1]
	s_cbranch_execz .LBB3_623
; %bb.618:                              ;   in Loop: Header=BB3_5 Depth=1
	global_load_dwordx2 v[9:10], v2, s[2:3] offset:24 glc
	s_waitcnt vmcnt(0)
	buffer_wbinvl1_vol
	global_load_dwordx2 v[3:4], v2, s[2:3] offset:40
	global_load_dwordx2 v[7:8], v2, s[2:3]
	s_waitcnt vmcnt(1)
	v_and_b32_e32 v1, v3, v9
	v_and_b32_e32 v3, v4, v10
	v_mul_lo_u32 v3, v3, 24
	v_mul_hi_u32 v4, v1, 24
	v_mul_lo_u32 v1, v1, 24
	v_add_u32_e32 v4, v4, v3
	s_waitcnt vmcnt(0)
	v_add_co_u32_e32 v3, vcc, v7, v1
	v_addc_co_u32_e32 v4, vcc, v8, v4, vcc
	global_load_dwordx2 v[7:8], v[3:4], off glc
	s_waitcnt vmcnt(0)
	global_atomic_cmpswap_x2 v[3:4], v2, v[7:10], s[2:3] offset:24 glc
	s_waitcnt vmcnt(0)
	buffer_wbinvl1_vol
	v_cmp_ne_u64_e32 vcc, v[3:4], v[9:10]
	s_and_saveexec_b64 s[16:17], vcc
	s_cbranch_execz .LBB3_622
; %bb.619:                              ;   in Loop: Header=BB3_5 Depth=1
	s_mov_b64 s[18:19], 0
.LBB3_620:                              ;   Parent Loop BB3_5 Depth=1
                                        ; =>  This Inner Loop Header: Depth=2
	s_sleep 1
	global_load_dwordx2 v[7:8], v2, s[2:3] offset:40
	global_load_dwordx2 v[11:12], v2, s[2:3]
	v_mov_b32_e32 v10, v4
	v_mov_b32_e32 v9, v3
	s_waitcnt vmcnt(1)
	v_and_b32_e32 v1, v7, v9
	s_waitcnt vmcnt(0)
	v_mad_u64_u32 v[3:4], s[20:21], v1, 24, v[11:12]
	v_and_b32_e32 v7, v8, v10
	v_mov_b32_e32 v1, v4
	v_mad_u64_u32 v[7:8], s[20:21], v7, 24, v[1:2]
	v_mov_b32_e32 v4, v7
	global_load_dwordx2 v[7:8], v[3:4], off glc
	s_waitcnt vmcnt(0)
	global_atomic_cmpswap_x2 v[3:4], v2, v[7:10], s[2:3] offset:24 glc
	s_waitcnt vmcnt(0)
	buffer_wbinvl1_vol
	v_cmp_eq_u64_e32 vcc, v[3:4], v[9:10]
	s_or_b64 s[18:19], vcc, s[18:19]
	s_andn2_b64 exec, exec, s[18:19]
	s_cbranch_execnz .LBB3_620
; %bb.621:                              ;   in Loop: Header=BB3_5 Depth=1
	s_or_b64 exec, exec, s[18:19]
.LBB3_622:                              ;   in Loop: Header=BB3_5 Depth=1
	s_or_b64 exec, exec, s[16:17]
.LBB3_623:                              ;   in Loop: Header=BB3_5 Depth=1
	s_or_b64 exec, exec, s[14:15]
	global_load_dwordx2 v[11:12], v2, s[2:3] offset:40
	global_load_dwordx4 v[7:10], v2, s[2:3]
	v_readfirstlane_b32 s15, v4
	v_readfirstlane_b32 s14, v3
	s_mov_b64 s[16:17], exec
	s_waitcnt vmcnt(1)
	v_readfirstlane_b32 s18, v11
	v_readfirstlane_b32 s19, v12
	s_and_b64 s[18:19], s[18:19], s[14:15]
	s_mul_i32 s20, s19, 24
	s_mul_hi_u32 s21, s18, 24
	s_mul_i32 s22, s18, 24
	s_add_i32 s20, s21, s20
	v_mov_b32_e32 v1, s20
	s_waitcnt vmcnt(0)
	v_add_co_u32_e32 v11, vcc, s22, v7
	v_addc_co_u32_e32 v12, vcc, v8, v1, vcc
	s_and_saveexec_b64 s[20:21], s[0:1]
	s_cbranch_execz .LBB3_625
; %bb.624:                              ;   in Loop: Header=BB3_5 Depth=1
	v_mov_b32_e32 v3, s16
	v_mov_b32_e32 v4, s17
	global_store_dwordx4 v[11:12], v[3:6], off offset:8
.LBB3_625:                              ;   in Loop: Header=BB3_5 Depth=1
	s_or_b64 exec, exec, s[20:21]
	s_lshl_b64 s[16:17], s[18:19], 12
	v_mov_b32_e32 v1, s17
	v_add_co_u32_e32 v13, vcc, s16, v9
	v_addc_co_u32_e32 v14, vcc, v10, v1, vcc
	v_mov_b32_e32 v18, s11
	v_mov_b32_e32 v1, v2
	;; [unrolled: 1-line block ×3, first 2 shown]
	v_readfirstlane_b32 s16, v13
	v_readfirstlane_b32 s17, v14
	v_mov_b32_e32 v17, s10
	v_mov_b32_e32 v16, s9
	;; [unrolled: 1-line block ×3, first 2 shown]
	s_nop 1
	global_store_dwordx4 v38, v[0:3], s[16:17]
	global_store_dwordx4 v38, v[15:18], s[16:17] offset:16
	global_store_dwordx4 v38, v[15:18], s[16:17] offset:32
	;; [unrolled: 1-line block ×3, first 2 shown]
	s_and_saveexec_b64 s[16:17], s[0:1]
	s_cbranch_execz .LBB3_633
; %bb.626:                              ;   in Loop: Header=BB3_5 Depth=1
	global_load_dwordx2 v[17:18], v2, s[2:3] offset:32 glc
	global_load_dwordx2 v[3:4], v2, s[2:3] offset:40
	v_mov_b32_e32 v15, s14
	v_mov_b32_e32 v16, s15
	s_waitcnt vmcnt(0)
	v_readfirstlane_b32 s18, v3
	v_readfirstlane_b32 s19, v4
	s_and_b64 s[18:19], s[18:19], s[14:15]
	s_mul_i32 s19, s19, 24
	s_mul_hi_u32 s20, s18, 24
	s_mul_i32 s18, s18, 24
	s_add_i32 s19, s20, s19
	v_mov_b32_e32 v1, s19
	v_add_co_u32_e32 v3, vcc, s18, v7
	v_addc_co_u32_e32 v4, vcc, v8, v1, vcc
	global_store_dwordx2 v[3:4], v[17:18], off
	s_waitcnt vmcnt(0)
	global_atomic_cmpswap_x2 v[9:10], v2, v[15:18], s[2:3] offset:32 glc
	s_waitcnt vmcnt(0)
	v_cmp_ne_u64_e32 vcc, v[9:10], v[17:18]
	s_and_saveexec_b64 s[18:19], vcc
	s_cbranch_execz .LBB3_629
; %bb.627:                              ;   in Loop: Header=BB3_5 Depth=1
	s_mov_b64 s[20:21], 0
.LBB3_628:                              ;   Parent Loop BB3_5 Depth=1
                                        ; =>  This Inner Loop Header: Depth=2
	s_sleep 1
	global_store_dwordx2 v[3:4], v[9:10], off
	v_mov_b32_e32 v7, s14
	v_mov_b32_e32 v8, s15
	s_waitcnt vmcnt(0)
	global_atomic_cmpswap_x2 v[7:8], v2, v[7:10], s[2:3] offset:32 glc
	s_waitcnt vmcnt(0)
	v_cmp_eq_u64_e32 vcc, v[7:8], v[9:10]
	v_mov_b32_e32 v10, v8
	s_or_b64 s[20:21], vcc, s[20:21]
	v_mov_b32_e32 v9, v7
	s_andn2_b64 exec, exec, s[20:21]
	s_cbranch_execnz .LBB3_628
.LBB3_629:                              ;   in Loop: Header=BB3_5 Depth=1
	s_or_b64 exec, exec, s[18:19]
	global_load_dwordx2 v[3:4], v2, s[2:3] offset:16
	s_mov_b64 s[20:21], exec
	v_mbcnt_lo_u32_b32 v1, s20, 0
	v_mbcnt_hi_u32_b32 v1, s21, v1
	v_cmp_eq_u32_e32 vcc, 0, v1
	s_and_saveexec_b64 s[18:19], vcc
	s_cbranch_execz .LBB3_631
; %bb.630:                              ;   in Loop: Header=BB3_5 Depth=1
	s_bcnt1_i32_b64 s20, s[20:21]
	v_mov_b32_e32 v1, s20
	s_waitcnt vmcnt(0)
	global_atomic_add_x2 v[3:4], v[1:2], off offset:8
.LBB3_631:                              ;   in Loop: Header=BB3_5 Depth=1
	s_or_b64 exec, exec, s[18:19]
	s_waitcnt vmcnt(0)
	global_load_dwordx2 v[7:8], v[3:4], off offset:16
	s_waitcnt vmcnt(0)
	v_cmp_eq_u64_e32 vcc, 0, v[7:8]
	s_cbranch_vccnz .LBB3_633
; %bb.632:                              ;   in Loop: Header=BB3_5 Depth=1
	global_load_dword v1, v[3:4], off offset:24
	s_waitcnt vmcnt(0)
	v_readfirstlane_b32 s18, v1
	s_and_b32 m0, s18, 0xffffff
	global_store_dwordx2 v[7:8], v[1:2], off
	s_sendmsg sendmsg(MSG_INTERRUPT)
.LBB3_633:                              ;   in Loop: Header=BB3_5 Depth=1
	s_or_b64 exec, exec, s[16:17]
	v_add_co_u32_e32 v3, vcc, v13, v38
	v_addc_co_u32_e32 v4, vcc, 0, v14, vcc
	s_branch .LBB3_637
.LBB3_634:                              ;   in Loop: Header=BB3_637 Depth=2
	s_or_b64 exec, exec, s[16:17]
	v_readfirstlane_b32 s16, v1
	s_cmp_eq_u32 s16, 0
	s_cbranch_scc1 .LBB3_636
; %bb.635:                              ;   in Loop: Header=BB3_637 Depth=2
	s_sleep 1
	s_cbranch_execnz .LBB3_637
	s_branch .LBB3_639
.LBB3_636:                              ;   in Loop: Header=BB3_5 Depth=1
	s_branch .LBB3_639
.LBB3_637:                              ;   Parent Loop BB3_5 Depth=1
                                        ; =>  This Inner Loop Header: Depth=2
	v_mov_b32_e32 v1, 1
	s_and_saveexec_b64 s[16:17], s[0:1]
	s_cbranch_execz .LBB3_634
; %bb.638:                              ;   in Loop: Header=BB3_637 Depth=2
	global_load_dword v1, v[11:12], off offset:20 glc
	s_waitcnt vmcnt(0)
	buffer_wbinvl1_vol
	v_and_b32_e32 v1, 1, v1
	s_branch .LBB3_634
.LBB3_639:                              ;   in Loop: Header=BB3_5 Depth=1
	global_load_dwordx2 v[11:12], v[3:4], off
	s_and_saveexec_b64 s[16:17], s[0:1]
	s_cbranch_execz .LBB3_643
; %bb.640:                              ;   in Loop: Header=BB3_5 Depth=1
	global_load_dwordx2 v[3:4], v2, s[2:3] offset:40
	global_load_dwordx2 v[15:16], v2, s[2:3] offset:24 glc
	global_load_dwordx2 v[7:8], v2, s[2:3]
	s_waitcnt vmcnt(2)
	v_readfirstlane_b32 s18, v3
	v_readfirstlane_b32 s19, v4
	s_add_u32 s20, s18, 1
	s_addc_u32 s21, s19, 0
	s_add_u32 s0, s20, s14
	s_addc_u32 s1, s21, s15
	s_cmp_eq_u64 s[0:1], 0
	s_cselect_b32 s1, s21, s1
	s_cselect_b32 s0, s20, s0
	s_and_b64 s[14:15], s[0:1], s[18:19]
	s_mul_i32 s15, s15, 24
	s_mul_hi_u32 s18, s14, 24
	s_mul_i32 s14, s14, 24
	s_add_i32 s15, s18, s15
	v_mov_b32_e32 v1, s15
	s_waitcnt vmcnt(0)
	v_add_co_u32_e32 v3, vcc, s14, v7
	v_addc_co_u32_e32 v4, vcc, v8, v1, vcc
	v_mov_b32_e32 v13, s0
	global_store_dwordx2 v[3:4], v[15:16], off
	v_mov_b32_e32 v14, s1
	s_waitcnt vmcnt(0)
	global_atomic_cmpswap_x2 v[9:10], v2, v[13:16], s[2:3] offset:24 glc
	s_waitcnt vmcnt(0)
	v_cmp_ne_u64_e32 vcc, v[9:10], v[15:16]
	s_and_b64 exec, exec, vcc
	s_cbranch_execz .LBB3_643
; %bb.641:                              ;   in Loop: Header=BB3_5 Depth=1
	s_mov_b64 s[14:15], 0
.LBB3_642:                              ;   Parent Loop BB3_5 Depth=1
                                        ; =>  This Inner Loop Header: Depth=2
	s_sleep 1
	global_store_dwordx2 v[3:4], v[9:10], off
	v_mov_b32_e32 v7, s0
	v_mov_b32_e32 v8, s1
	s_waitcnt vmcnt(0)
	global_atomic_cmpswap_x2 v[7:8], v2, v[7:10], s[2:3] offset:24 glc
	s_waitcnt vmcnt(0)
	v_cmp_eq_u64_e32 vcc, v[7:8], v[9:10]
	v_mov_b32_e32 v10, v8
	s_or_b64 s[14:15], vcc, s[14:15]
	v_mov_b32_e32 v9, v7
	s_andn2_b64 exec, exec, s[14:15]
	s_cbranch_execnz .LBB3_642
.LBB3_643:                              ;   in Loop: Header=BB3_5 Depth=1
	s_or_b64 exec, exec, s[16:17]
	s_and_b64 vcc, exec, s[6:7]
	s_cbranch_vccz .LBB3_815
; %bb.644:                              ;   in Loop: Header=BB3_5 Depth=1
	s_waitcnt vmcnt(0)
	v_and_b32_e32 v35, 2, v11
	v_and_b32_e32 v7, -3, v11
	v_mov_b32_e32 v8, v12
	s_mov_b64 s[16:17], 9
	s_getpc_b64 s[14:15]
	s_add_u32 s14, s14, .str.5@rel32@lo+4
	s_addc_u32 s15, s15, .str.5@rel32@hi+12
	s_branch .LBB3_646
.LBB3_645:                              ;   in Loop: Header=BB3_646 Depth=2
	s_or_b64 exec, exec, s[22:23]
	s_sub_u32 s16, s16, s18
	s_subb_u32 s17, s17, s19
	s_add_u32 s14, s14, s18
	s_addc_u32 s15, s15, s19
	s_cmp_lg_u64 s[16:17], 0
	s_cbranch_scc0 .LBB3_728
.LBB3_646:                              ;   Parent Loop BB3_5 Depth=1
                                        ; =>  This Loop Header: Depth=2
                                        ;       Child Loop BB3_649 Depth 3
                                        ;       Child Loop BB3_657 Depth 3
	;; [unrolled: 1-line block ×11, first 2 shown]
	v_cmp_lt_u64_e64 s[0:1], s[16:17], 56
	v_cmp_gt_u64_e64 s[20:21], s[16:17], 7
	s_and_b64 s[0:1], s[0:1], exec
	s_cselect_b32 s19, s17, 0
	s_cselect_b32 s18, s16, 56
	s_add_u32 s0, s14, 8
	s_addc_u32 s1, s15, 0
	s_and_b64 vcc, exec, s[20:21]
	s_cbranch_vccnz .LBB3_650
; %bb.647:                              ;   in Loop: Header=BB3_646 Depth=2
	s_cmp_eq_u64 s[16:17], 0
	s_cbranch_scc1 .LBB3_651
; %bb.648:                              ;   in Loop: Header=BB3_646 Depth=2
	v_mov_b32_e32 v9, 0
	s_lshl_b64 s[0:1], s[18:19], 3
	s_mov_b64 s[20:21], 0
	v_mov_b32_e32 v10, 0
	s_mov_b64 s[22:23], s[14:15]
.LBB3_649:                              ;   Parent Loop BB3_5 Depth=1
                                        ;     Parent Loop BB3_646 Depth=2
                                        ; =>    This Inner Loop Header: Depth=3
	global_load_ubyte v1, v2, s[22:23]
	s_waitcnt vmcnt(0)
	v_and_b32_e32 v1, 0xffff, v1
	v_lshlrev_b64 v[3:4], s20, v[1:2]
	s_add_u32 s20, s20, 8
	s_addc_u32 s21, s21, 0
	s_add_u32 s22, s22, 1
	s_addc_u32 s23, s23, 0
	v_or_b32_e32 v9, v3, v9
	s_cmp_lg_u32 s0, s20
	v_or_b32_e32 v10, v4, v10
	s_cbranch_scc1 .LBB3_649
	s_branch .LBB3_652
.LBB3_650:                              ;   in Loop: Header=BB3_646 Depth=2
	s_mov_b32 s24, 0
	s_branch .LBB3_653
.LBB3_651:                              ;   in Loop: Header=BB3_646 Depth=2
	v_mov_b32_e32 v9, 0
	v_mov_b32_e32 v10, 0
.LBB3_652:                              ;   in Loop: Header=BB3_646 Depth=2
	s_mov_b64 s[0:1], s[14:15]
	s_mov_b32 s24, 0
	s_cbranch_execnz .LBB3_654
.LBB3_653:                              ;   in Loop: Header=BB3_646 Depth=2
	global_load_dwordx2 v[9:10], v2, s[14:15]
	s_add_i32 s24, s18, -8
.LBB3_654:                              ;   in Loop: Header=BB3_646 Depth=2
	s_add_u32 s20, s0, 8
	s_addc_u32 s21, s1, 0
	s_cmp_gt_u32 s24, 7
	s_cbranch_scc1 .LBB3_658
; %bb.655:                              ;   in Loop: Header=BB3_646 Depth=2
	s_cmp_eq_u32 s24, 0
	s_cbranch_scc1 .LBB3_659
; %bb.656:                              ;   in Loop: Header=BB3_646 Depth=2
	v_mov_b32_e32 v13, 0
	s_mov_b64 s[20:21], 0
	v_mov_b32_e32 v14, 0
	s_mov_b64 s[22:23], 0
.LBB3_657:                              ;   Parent Loop BB3_5 Depth=1
                                        ;     Parent Loop BB3_646 Depth=2
                                        ; =>    This Inner Loop Header: Depth=3
	s_add_u32 s26, s0, s22
	s_addc_u32 s27, s1, s23
	global_load_ubyte v1, v2, s[26:27]
	s_add_u32 s22, s22, 1
	s_addc_u32 s23, s23, 0
	s_waitcnt vmcnt(0)
	v_and_b32_e32 v1, 0xffff, v1
	v_lshlrev_b64 v[3:4], s20, v[1:2]
	s_add_u32 s20, s20, 8
	s_addc_u32 s21, s21, 0
	v_or_b32_e32 v13, v3, v13
	s_cmp_lg_u32 s24, s22
	v_or_b32_e32 v14, v4, v14
	s_cbranch_scc1 .LBB3_657
	s_branch .LBB3_660
.LBB3_658:                              ;   in Loop: Header=BB3_646 Depth=2
                                        ; implicit-def: $vgpr13_vgpr14
	s_mov_b32 s25, 0
	s_branch .LBB3_661
.LBB3_659:                              ;   in Loop: Header=BB3_646 Depth=2
	v_mov_b32_e32 v13, 0
	v_mov_b32_e32 v14, 0
.LBB3_660:                              ;   in Loop: Header=BB3_646 Depth=2
	s_mov_b64 s[20:21], s[0:1]
	s_mov_b32 s25, 0
	s_cbranch_execnz .LBB3_662
.LBB3_661:                              ;   in Loop: Header=BB3_646 Depth=2
	global_load_dwordx2 v[13:14], v2, s[0:1]
	s_add_i32 s25, s24, -8
.LBB3_662:                              ;   in Loop: Header=BB3_646 Depth=2
	s_add_u32 s0, s20, 8
	s_addc_u32 s1, s21, 0
	s_cmp_gt_u32 s25, 7
	s_cbranch_scc1 .LBB3_666
; %bb.663:                              ;   in Loop: Header=BB3_646 Depth=2
	s_cmp_eq_u32 s25, 0
	s_cbranch_scc1 .LBB3_667
; %bb.664:                              ;   in Loop: Header=BB3_646 Depth=2
	v_mov_b32_e32 v15, 0
	s_mov_b64 s[0:1], 0
	v_mov_b32_e32 v16, 0
	s_mov_b64 s[22:23], 0
.LBB3_665:                              ;   Parent Loop BB3_5 Depth=1
                                        ;     Parent Loop BB3_646 Depth=2
                                        ; =>    This Inner Loop Header: Depth=3
	s_add_u32 s26, s20, s22
	s_addc_u32 s27, s21, s23
	global_load_ubyte v1, v2, s[26:27]
	s_add_u32 s22, s22, 1
	s_addc_u32 s23, s23, 0
	s_waitcnt vmcnt(0)
	v_and_b32_e32 v1, 0xffff, v1
	v_lshlrev_b64 v[3:4], s0, v[1:2]
	s_add_u32 s0, s0, 8
	s_addc_u32 s1, s1, 0
	v_or_b32_e32 v15, v3, v15
	s_cmp_lg_u32 s25, s22
	v_or_b32_e32 v16, v4, v16
	s_cbranch_scc1 .LBB3_665
	s_branch .LBB3_668
.LBB3_666:                              ;   in Loop: Header=BB3_646 Depth=2
	s_mov_b32 s24, 0
	s_branch .LBB3_669
.LBB3_667:                              ;   in Loop: Header=BB3_646 Depth=2
	v_mov_b32_e32 v15, 0
	v_mov_b32_e32 v16, 0
.LBB3_668:                              ;   in Loop: Header=BB3_646 Depth=2
	s_mov_b64 s[0:1], s[20:21]
	s_mov_b32 s24, 0
	s_cbranch_execnz .LBB3_670
.LBB3_669:                              ;   in Loop: Header=BB3_646 Depth=2
	global_load_dwordx2 v[15:16], v2, s[20:21]
	s_add_i32 s24, s25, -8
.LBB3_670:                              ;   in Loop: Header=BB3_646 Depth=2
	s_add_u32 s20, s0, 8
	s_addc_u32 s21, s1, 0
	s_cmp_gt_u32 s24, 7
	s_cbranch_scc1 .LBB3_674
; %bb.671:                              ;   in Loop: Header=BB3_646 Depth=2
	s_cmp_eq_u32 s24, 0
	s_cbranch_scc1 .LBB3_675
; %bb.672:                              ;   in Loop: Header=BB3_646 Depth=2
	v_mov_b32_e32 v17, 0
	s_mov_b64 s[20:21], 0
	v_mov_b32_e32 v18, 0
	s_mov_b64 s[22:23], 0
.LBB3_673:                              ;   Parent Loop BB3_5 Depth=1
                                        ;     Parent Loop BB3_646 Depth=2
                                        ; =>    This Inner Loop Header: Depth=3
	s_add_u32 s26, s0, s22
	s_addc_u32 s27, s1, s23
	global_load_ubyte v1, v2, s[26:27]
	s_add_u32 s22, s22, 1
	s_addc_u32 s23, s23, 0
	s_waitcnt vmcnt(0)
	v_and_b32_e32 v1, 0xffff, v1
	v_lshlrev_b64 v[3:4], s20, v[1:2]
	s_add_u32 s20, s20, 8
	s_addc_u32 s21, s21, 0
	v_or_b32_e32 v17, v3, v17
	s_cmp_lg_u32 s24, s22
	v_or_b32_e32 v18, v4, v18
	s_cbranch_scc1 .LBB3_673
	s_branch .LBB3_676
.LBB3_674:                              ;   in Loop: Header=BB3_646 Depth=2
                                        ; implicit-def: $vgpr17_vgpr18
	s_mov_b32 s25, 0
	s_branch .LBB3_677
.LBB3_675:                              ;   in Loop: Header=BB3_646 Depth=2
	v_mov_b32_e32 v17, 0
	v_mov_b32_e32 v18, 0
.LBB3_676:                              ;   in Loop: Header=BB3_646 Depth=2
	s_mov_b64 s[20:21], s[0:1]
	s_mov_b32 s25, 0
	s_cbranch_execnz .LBB3_678
.LBB3_677:                              ;   in Loop: Header=BB3_646 Depth=2
	global_load_dwordx2 v[17:18], v2, s[0:1]
	s_add_i32 s25, s24, -8
.LBB3_678:                              ;   in Loop: Header=BB3_646 Depth=2
	s_add_u32 s0, s20, 8
	s_addc_u32 s1, s21, 0
	s_cmp_gt_u32 s25, 7
	s_cbranch_scc1 .LBB3_682
; %bb.679:                              ;   in Loop: Header=BB3_646 Depth=2
	s_cmp_eq_u32 s25, 0
	s_cbranch_scc1 .LBB3_683
; %bb.680:                              ;   in Loop: Header=BB3_646 Depth=2
	v_mov_b32_e32 v19, 0
	s_mov_b64 s[0:1], 0
	v_mov_b32_e32 v20, 0
	s_mov_b64 s[22:23], 0
.LBB3_681:                              ;   Parent Loop BB3_5 Depth=1
                                        ;     Parent Loop BB3_646 Depth=2
                                        ; =>    This Inner Loop Header: Depth=3
	s_add_u32 s26, s20, s22
	s_addc_u32 s27, s21, s23
	global_load_ubyte v1, v2, s[26:27]
	s_add_u32 s22, s22, 1
	s_addc_u32 s23, s23, 0
	s_waitcnt vmcnt(0)
	v_and_b32_e32 v1, 0xffff, v1
	v_lshlrev_b64 v[3:4], s0, v[1:2]
	s_add_u32 s0, s0, 8
	s_addc_u32 s1, s1, 0
	v_or_b32_e32 v19, v3, v19
	s_cmp_lg_u32 s25, s22
	v_or_b32_e32 v20, v4, v20
	s_cbranch_scc1 .LBB3_681
	s_branch .LBB3_684
.LBB3_682:                              ;   in Loop: Header=BB3_646 Depth=2
	s_mov_b32 s24, 0
	s_branch .LBB3_685
.LBB3_683:                              ;   in Loop: Header=BB3_646 Depth=2
	v_mov_b32_e32 v19, 0
	v_mov_b32_e32 v20, 0
.LBB3_684:                              ;   in Loop: Header=BB3_646 Depth=2
	s_mov_b64 s[0:1], s[20:21]
	s_mov_b32 s24, 0
	s_cbranch_execnz .LBB3_686
.LBB3_685:                              ;   in Loop: Header=BB3_646 Depth=2
	global_load_dwordx2 v[19:20], v2, s[20:21]
	s_add_i32 s24, s25, -8
.LBB3_686:                              ;   in Loop: Header=BB3_646 Depth=2
	s_add_u32 s20, s0, 8
	s_addc_u32 s21, s1, 0
	s_cmp_gt_u32 s24, 7
	s_cbranch_scc1 .LBB3_690
; %bb.687:                              ;   in Loop: Header=BB3_646 Depth=2
	s_cmp_eq_u32 s24, 0
	s_cbranch_scc1 .LBB3_691
; %bb.688:                              ;   in Loop: Header=BB3_646 Depth=2
	v_mov_b32_e32 v21, 0
	s_mov_b64 s[20:21], 0
	v_mov_b32_e32 v22, 0
	s_mov_b64 s[22:23], 0
.LBB3_689:                              ;   Parent Loop BB3_5 Depth=1
                                        ;     Parent Loop BB3_646 Depth=2
                                        ; =>    This Inner Loop Header: Depth=3
	s_add_u32 s26, s0, s22
	s_addc_u32 s27, s1, s23
	global_load_ubyte v1, v2, s[26:27]
	s_add_u32 s22, s22, 1
	s_addc_u32 s23, s23, 0
	s_waitcnt vmcnt(0)
	v_and_b32_e32 v1, 0xffff, v1
	v_lshlrev_b64 v[3:4], s20, v[1:2]
	s_add_u32 s20, s20, 8
	s_addc_u32 s21, s21, 0
	v_or_b32_e32 v21, v3, v21
	s_cmp_lg_u32 s24, s22
	v_or_b32_e32 v22, v4, v22
	s_cbranch_scc1 .LBB3_689
	s_branch .LBB3_692
.LBB3_690:                              ;   in Loop: Header=BB3_646 Depth=2
                                        ; implicit-def: $vgpr21_vgpr22
	s_mov_b32 s25, 0
	s_branch .LBB3_693
.LBB3_691:                              ;   in Loop: Header=BB3_646 Depth=2
	v_mov_b32_e32 v21, 0
	v_mov_b32_e32 v22, 0
.LBB3_692:                              ;   in Loop: Header=BB3_646 Depth=2
	s_mov_b64 s[20:21], s[0:1]
	s_mov_b32 s25, 0
	s_cbranch_execnz .LBB3_694
.LBB3_693:                              ;   in Loop: Header=BB3_646 Depth=2
	global_load_dwordx2 v[21:22], v2, s[0:1]
	s_add_i32 s25, s24, -8
.LBB3_694:                              ;   in Loop: Header=BB3_646 Depth=2
	s_cmp_gt_u32 s25, 7
	s_cbranch_scc1 .LBB3_698
; %bb.695:                              ;   in Loop: Header=BB3_646 Depth=2
	s_cmp_eq_u32 s25, 0
	s_cbranch_scc1 .LBB3_699
; %bb.696:                              ;   in Loop: Header=BB3_646 Depth=2
	v_mov_b32_e32 v23, 0
	s_mov_b64 s[0:1], 0
	v_mov_b32_e32 v24, 0
	s_mov_b64 s[22:23], s[20:21]
.LBB3_697:                              ;   Parent Loop BB3_5 Depth=1
                                        ;     Parent Loop BB3_646 Depth=2
                                        ; =>    This Inner Loop Header: Depth=3
	global_load_ubyte v1, v2, s[22:23]
	s_add_i32 s25, s25, -1
	s_waitcnt vmcnt(0)
	v_and_b32_e32 v1, 0xffff, v1
	v_lshlrev_b64 v[3:4], s0, v[1:2]
	s_add_u32 s0, s0, 8
	s_addc_u32 s1, s1, 0
	s_add_u32 s22, s22, 1
	s_addc_u32 s23, s23, 0
	v_or_b32_e32 v23, v3, v23
	s_cmp_lg_u32 s25, 0
	v_or_b32_e32 v24, v4, v24
	s_cbranch_scc1 .LBB3_697
	s_branch .LBB3_700
.LBB3_698:                              ;   in Loop: Header=BB3_646 Depth=2
	s_branch .LBB3_701
.LBB3_699:                              ;   in Loop: Header=BB3_646 Depth=2
	v_mov_b32_e32 v23, 0
	v_mov_b32_e32 v24, 0
.LBB3_700:                              ;   in Loop: Header=BB3_646 Depth=2
	s_cbranch_execnz .LBB3_702
.LBB3_701:                              ;   in Loop: Header=BB3_646 Depth=2
	global_load_dwordx2 v[23:24], v2, s[20:21]
.LBB3_702:                              ;   in Loop: Header=BB3_646 Depth=2
	v_readfirstlane_b32 s0, v36
	v_mov_b32_e32 v3, 0
	v_mov_b32_e32 v4, 0
	v_cmp_eq_u32_e64 s[0:1], s0, v36
	s_and_saveexec_b64 s[20:21], s[0:1]
	s_cbranch_execz .LBB3_708
; %bb.703:                              ;   in Loop: Header=BB3_646 Depth=2
	global_load_dwordx2 v[27:28], v2, s[2:3] offset:24 glc
	s_waitcnt vmcnt(0)
	buffer_wbinvl1_vol
	global_load_dwordx2 v[3:4], v2, s[2:3] offset:40
	global_load_dwordx2 v[25:26], v2, s[2:3]
	s_waitcnt vmcnt(1)
	v_and_b32_e32 v1, v3, v27
	v_and_b32_e32 v3, v4, v28
	v_mul_lo_u32 v3, v3, 24
	v_mul_hi_u32 v4, v1, 24
	v_mul_lo_u32 v1, v1, 24
	v_add_u32_e32 v4, v4, v3
	s_waitcnt vmcnt(0)
	v_add_co_u32_e32 v3, vcc, v25, v1
	v_addc_co_u32_e32 v4, vcc, v26, v4, vcc
	global_load_dwordx2 v[25:26], v[3:4], off glc
	s_waitcnt vmcnt(0)
	global_atomic_cmpswap_x2 v[3:4], v2, v[25:28], s[2:3] offset:24 glc
	s_waitcnt vmcnt(0)
	buffer_wbinvl1_vol
	v_cmp_ne_u64_e32 vcc, v[3:4], v[27:28]
	s_and_saveexec_b64 s[22:23], vcc
	s_cbranch_execz .LBB3_707
; %bb.704:                              ;   in Loop: Header=BB3_646 Depth=2
	s_mov_b64 s[24:25], 0
.LBB3_705:                              ;   Parent Loop BB3_5 Depth=1
                                        ;     Parent Loop BB3_646 Depth=2
                                        ; =>    This Inner Loop Header: Depth=3
	s_sleep 1
	global_load_dwordx2 v[25:26], v2, s[2:3] offset:40
	global_load_dwordx2 v[33:34], v2, s[2:3]
	v_mov_b32_e32 v28, v4
	v_mov_b32_e32 v27, v3
	s_waitcnt vmcnt(1)
	v_and_b32_e32 v1, v25, v27
	s_waitcnt vmcnt(0)
	v_mad_u64_u32 v[3:4], s[26:27], v1, 24, v[33:34]
	v_and_b32_e32 v25, v26, v28
	v_mov_b32_e32 v1, v4
	v_mad_u64_u32 v[25:26], s[26:27], v25, 24, v[1:2]
	v_mov_b32_e32 v4, v25
	global_load_dwordx2 v[25:26], v[3:4], off glc
	s_waitcnt vmcnt(0)
	global_atomic_cmpswap_x2 v[3:4], v2, v[25:28], s[2:3] offset:24 glc
	s_waitcnt vmcnt(0)
	buffer_wbinvl1_vol
	v_cmp_eq_u64_e32 vcc, v[3:4], v[27:28]
	s_or_b64 s[24:25], vcc, s[24:25]
	s_andn2_b64 exec, exec, s[24:25]
	s_cbranch_execnz .LBB3_705
; %bb.706:                              ;   in Loop: Header=BB3_646 Depth=2
	s_or_b64 exec, exec, s[24:25]
.LBB3_707:                              ;   in Loop: Header=BB3_646 Depth=2
	s_or_b64 exec, exec, s[22:23]
.LBB3_708:                              ;   in Loop: Header=BB3_646 Depth=2
	s_or_b64 exec, exec, s[20:21]
	global_load_dwordx2 v[33:34], v2, s[2:3] offset:40
	global_load_dwordx4 v[25:28], v2, s[2:3]
	v_readfirstlane_b32 s21, v4
	v_readfirstlane_b32 s20, v3
	s_mov_b64 s[22:23], exec
	s_waitcnt vmcnt(1)
	v_readfirstlane_b32 s24, v33
	v_readfirstlane_b32 s25, v34
	s_and_b64 s[24:25], s[24:25], s[20:21]
	s_mul_i32 s26, s25, 24
	s_mul_hi_u32 s27, s24, 24
	s_mul_i32 s33, s24, 24
	s_add_i32 s26, s27, s26
	v_mov_b32_e32 v1, s26
	s_waitcnt vmcnt(0)
	v_add_co_u32_e32 v33, vcc, s33, v25
	v_addc_co_u32_e32 v34, vcc, v26, v1, vcc
	s_and_saveexec_b64 s[26:27], s[0:1]
	s_cbranch_execz .LBB3_710
; %bb.709:                              ;   in Loop: Header=BB3_646 Depth=2
	v_mov_b32_e32 v3, s22
	v_mov_b32_e32 v4, s23
	global_store_dwordx4 v[33:34], v[3:6], off offset:8
.LBB3_710:                              ;   in Loop: Header=BB3_646 Depth=2
	s_or_b64 exec, exec, s[26:27]
	s_lshl_b64 s[22:23], s[24:25], 12
	v_mov_b32_e32 v1, s23
	v_add_co_u32_e32 v27, vcc, s22, v27
	v_addc_co_u32_e32 v28, vcc, v28, v1, vcc
	v_cmp_lt_u64_e64 vcc, s[16:17], 57
	s_lshl_b32 s22, s18, 2
	v_cndmask_b32_e32 v1, 0, v35, vcc
	s_add_i32 s22, s22, 28
	v_and_b32_e32 v3, 0xffffff1f, v7
	s_and_b32 s22, s22, 0x1e0
	v_or_b32_e32 v1, v3, v1
	v_or_b32_e32 v7, s22, v1
	v_readfirstlane_b32 s22, v27
	v_readfirstlane_b32 s23, v28
	s_nop 4
	global_store_dwordx4 v38, v[7:10], s[22:23]
	global_store_dwordx4 v38, v[13:16], s[22:23] offset:16
	global_store_dwordx4 v38, v[17:20], s[22:23] offset:32
	;; [unrolled: 1-line block ×3, first 2 shown]
	s_and_saveexec_b64 s[22:23], s[0:1]
	s_cbranch_execz .LBB3_718
; %bb.711:                              ;   in Loop: Header=BB3_646 Depth=2
	global_load_dwordx2 v[15:16], v2, s[2:3] offset:32 glc
	global_load_dwordx2 v[3:4], v2, s[2:3] offset:40
	v_mov_b32_e32 v13, s20
	v_mov_b32_e32 v14, s21
	s_waitcnt vmcnt(0)
	v_readfirstlane_b32 s24, v3
	v_readfirstlane_b32 s25, v4
	s_and_b64 s[24:25], s[24:25], s[20:21]
	s_mul_i32 s25, s25, 24
	s_mul_hi_u32 s26, s24, 24
	s_mul_i32 s24, s24, 24
	s_add_i32 s25, s26, s25
	v_mov_b32_e32 v1, s25
	v_add_co_u32_e32 v3, vcc, s24, v25
	v_addc_co_u32_e32 v4, vcc, v26, v1, vcc
	global_store_dwordx2 v[3:4], v[15:16], off
	s_waitcnt vmcnt(0)
	global_atomic_cmpswap_x2 v[9:10], v2, v[13:16], s[2:3] offset:32 glc
	s_waitcnt vmcnt(0)
	v_cmp_ne_u64_e32 vcc, v[9:10], v[15:16]
	s_and_saveexec_b64 s[24:25], vcc
	s_cbranch_execz .LBB3_714
; %bb.712:                              ;   in Loop: Header=BB3_646 Depth=2
	s_mov_b64 s[26:27], 0
.LBB3_713:                              ;   Parent Loop BB3_5 Depth=1
                                        ;     Parent Loop BB3_646 Depth=2
                                        ; =>    This Inner Loop Header: Depth=3
	s_sleep 1
	global_store_dwordx2 v[3:4], v[9:10], off
	v_mov_b32_e32 v7, s20
	v_mov_b32_e32 v8, s21
	s_waitcnt vmcnt(0)
	global_atomic_cmpswap_x2 v[7:8], v2, v[7:10], s[2:3] offset:32 glc
	s_waitcnt vmcnt(0)
	v_cmp_eq_u64_e32 vcc, v[7:8], v[9:10]
	v_mov_b32_e32 v10, v8
	s_or_b64 s[26:27], vcc, s[26:27]
	v_mov_b32_e32 v9, v7
	s_andn2_b64 exec, exec, s[26:27]
	s_cbranch_execnz .LBB3_713
.LBB3_714:                              ;   in Loop: Header=BB3_646 Depth=2
	s_or_b64 exec, exec, s[24:25]
	global_load_dwordx2 v[3:4], v2, s[2:3] offset:16
	s_mov_b64 s[26:27], exec
	v_mbcnt_lo_u32_b32 v1, s26, 0
	v_mbcnt_hi_u32_b32 v1, s27, v1
	v_cmp_eq_u32_e32 vcc, 0, v1
	s_and_saveexec_b64 s[24:25], vcc
	s_cbranch_execz .LBB3_716
; %bb.715:                              ;   in Loop: Header=BB3_646 Depth=2
	s_bcnt1_i32_b64 s26, s[26:27]
	v_mov_b32_e32 v1, s26
	s_waitcnt vmcnt(0)
	global_atomic_add_x2 v[3:4], v[1:2], off offset:8
.LBB3_716:                              ;   in Loop: Header=BB3_646 Depth=2
	s_or_b64 exec, exec, s[24:25]
	s_waitcnt vmcnt(0)
	global_load_dwordx2 v[7:8], v[3:4], off offset:16
	s_waitcnt vmcnt(0)
	v_cmp_eq_u64_e32 vcc, 0, v[7:8]
	s_cbranch_vccnz .LBB3_718
; %bb.717:                              ;   in Loop: Header=BB3_646 Depth=2
	global_load_dword v1, v[3:4], off offset:24
	s_waitcnt vmcnt(0)
	v_readfirstlane_b32 s24, v1
	s_and_b32 m0, s24, 0xffffff
	global_store_dwordx2 v[7:8], v[1:2], off
	s_sendmsg sendmsg(MSG_INTERRUPT)
.LBB3_718:                              ;   in Loop: Header=BB3_646 Depth=2
	s_or_b64 exec, exec, s[22:23]
	v_add_co_u32_e32 v3, vcc, v27, v38
	v_addc_co_u32_e32 v4, vcc, 0, v28, vcc
	s_branch .LBB3_722
.LBB3_719:                              ;   in Loop: Header=BB3_722 Depth=3
	s_or_b64 exec, exec, s[22:23]
	v_readfirstlane_b32 s22, v1
	s_cmp_eq_u32 s22, 0
	s_cbranch_scc1 .LBB3_721
; %bb.720:                              ;   in Loop: Header=BB3_722 Depth=3
	s_sleep 1
	s_cbranch_execnz .LBB3_722
	s_branch .LBB3_724
.LBB3_721:                              ;   in Loop: Header=BB3_646 Depth=2
	s_branch .LBB3_724
.LBB3_722:                              ;   Parent Loop BB3_5 Depth=1
                                        ;     Parent Loop BB3_646 Depth=2
                                        ; =>    This Inner Loop Header: Depth=3
	v_mov_b32_e32 v1, 1
	s_and_saveexec_b64 s[22:23], s[0:1]
	s_cbranch_execz .LBB3_719
; %bb.723:                              ;   in Loop: Header=BB3_722 Depth=3
	global_load_dword v1, v[33:34], off offset:20 glc
	s_waitcnt vmcnt(0)
	buffer_wbinvl1_vol
	v_and_b32_e32 v1, 1, v1
	s_branch .LBB3_719
.LBB3_724:                              ;   in Loop: Header=BB3_646 Depth=2
	global_load_dwordx2 v[7:8], v[3:4], off
	s_and_saveexec_b64 s[22:23], s[0:1]
	s_cbranch_execz .LBB3_645
; %bb.725:                              ;   in Loop: Header=BB3_646 Depth=2
	global_load_dwordx2 v[3:4], v2, s[2:3] offset:40
	global_load_dwordx2 v[17:18], v2, s[2:3] offset:24 glc
	global_load_dwordx2 v[9:10], v2, s[2:3]
	s_waitcnt vmcnt(2)
	v_readfirstlane_b32 s24, v3
	v_readfirstlane_b32 s25, v4
	s_add_u32 s26, s24, 1
	s_addc_u32 s27, s25, 0
	s_add_u32 s0, s26, s20
	s_addc_u32 s1, s27, s21
	s_cmp_eq_u64 s[0:1], 0
	s_cselect_b32 s1, s27, s1
	s_cselect_b32 s0, s26, s0
	s_and_b64 s[20:21], s[0:1], s[24:25]
	s_mul_i32 s21, s21, 24
	s_mul_hi_u32 s24, s20, 24
	s_mul_i32 s20, s20, 24
	s_add_i32 s21, s24, s21
	v_mov_b32_e32 v1, s21
	s_waitcnt vmcnt(0)
	v_add_co_u32_e32 v3, vcc, s20, v9
	v_addc_co_u32_e32 v4, vcc, v10, v1, vcc
	v_mov_b32_e32 v15, s0
	global_store_dwordx2 v[3:4], v[17:18], off
	v_mov_b32_e32 v16, s1
	s_waitcnt vmcnt(0)
	global_atomic_cmpswap_x2 v[15:16], v2, v[15:18], s[2:3] offset:24 glc
	s_waitcnt vmcnt(0)
	v_cmp_ne_u64_e32 vcc, v[15:16], v[17:18]
	s_and_b64 exec, exec, vcc
	s_cbranch_execz .LBB3_645
; %bb.726:                              ;   in Loop: Header=BB3_646 Depth=2
	s_mov_b64 s[20:21], 0
.LBB3_727:                              ;   Parent Loop BB3_5 Depth=1
                                        ;     Parent Loop BB3_646 Depth=2
                                        ; =>    This Inner Loop Header: Depth=3
	s_sleep 1
	global_store_dwordx2 v[3:4], v[15:16], off
	v_mov_b32_e32 v13, s0
	v_mov_b32_e32 v14, s1
	s_waitcnt vmcnt(0)
	global_atomic_cmpswap_x2 v[9:10], v2, v[13:16], s[2:3] offset:24 glc
	s_waitcnt vmcnt(0)
	v_cmp_eq_u64_e32 vcc, v[9:10], v[15:16]
	v_mov_b32_e32 v16, v10
	s_or_b64 s[20:21], vcc, s[20:21]
	v_mov_b32_e32 v15, v9
	s_andn2_b64 exec, exec, s[20:21]
	s_cbranch_execnz .LBB3_727
	s_branch .LBB3_645
.LBB3_728:                              ;   in Loop: Header=BB3_5 Depth=1
.LBB3_729:                              ;   in Loop: Header=BB3_5 Depth=1
	s_and_b64 vcc, exec, s[12:13]
	s_cbranch_vccz .LBB3_843
.LBB3_730:                              ;   in Loop: Header=BB3_5 Depth=1
	s_waitcnt vmcnt(0)
	v_and_b32_e32 v35, 2, v7
	v_and_b32_e32 v9, -3, v7
	v_mov_b32_e32 v10, v8
	s_mov_b64 s[16:17], 56
	s_getpc_b64 s[14:15]
	s_add_u32 s14, s14, .str.4@rel32@lo+4
	s_addc_u32 s15, s15, .str.4@rel32@hi+12
	s_branch .LBB3_732
.LBB3_731:                              ;   in Loop: Header=BB3_732 Depth=2
	s_or_b64 exec, exec, s[22:23]
	s_sub_u32 s16, s16, s18
	s_subb_u32 s17, s17, s19
	s_add_u32 s14, s14, s18
	s_addc_u32 s15, s15, s19
	s_cmp_lg_u64 s[16:17], 0
	s_cbranch_scc0 .LBB3_814
.LBB3_732:                              ;   Parent Loop BB3_5 Depth=1
                                        ; =>  This Loop Header: Depth=2
                                        ;       Child Loop BB3_735 Depth 3
                                        ;       Child Loop BB3_743 Depth 3
	;; [unrolled: 1-line block ×11, first 2 shown]
	v_cmp_lt_u64_e64 s[0:1], s[16:17], 56
	v_cmp_gt_u64_e64 s[20:21], s[16:17], 7
	s_and_b64 s[0:1], s[0:1], exec
	s_cselect_b32 s19, s17, 0
	s_cselect_b32 s18, s16, 56
	s_add_u32 s0, s14, 8
	s_addc_u32 s1, s15, 0
	s_and_b64 vcc, exec, s[20:21]
	s_cbranch_vccnz .LBB3_736
; %bb.733:                              ;   in Loop: Header=BB3_732 Depth=2
	s_cmp_eq_u64 s[16:17], 0
	s_cbranch_scc1 .LBB3_737
; %bb.734:                              ;   in Loop: Header=BB3_732 Depth=2
	v_mov_b32_e32 v11, 0
	s_lshl_b64 s[0:1], s[18:19], 3
	s_mov_b64 s[20:21], 0
	v_mov_b32_e32 v12, 0
	s_mov_b64 s[22:23], s[14:15]
.LBB3_735:                              ;   Parent Loop BB3_5 Depth=1
                                        ;     Parent Loop BB3_732 Depth=2
                                        ; =>    This Inner Loop Header: Depth=3
	global_load_ubyte v1, v2, s[22:23]
	s_waitcnt vmcnt(0)
	v_and_b32_e32 v1, 0xffff, v1
	v_lshlrev_b64 v[3:4], s20, v[1:2]
	s_add_u32 s20, s20, 8
	s_addc_u32 s21, s21, 0
	s_add_u32 s22, s22, 1
	s_addc_u32 s23, s23, 0
	v_or_b32_e32 v11, v3, v11
	s_cmp_lg_u32 s0, s20
	v_or_b32_e32 v12, v4, v12
	s_cbranch_scc1 .LBB3_735
	s_branch .LBB3_738
.LBB3_736:                              ;   in Loop: Header=BB3_732 Depth=2
	s_mov_b32 s24, 0
	s_branch .LBB3_739
.LBB3_737:                              ;   in Loop: Header=BB3_732 Depth=2
	v_mov_b32_e32 v11, 0
	v_mov_b32_e32 v12, 0
.LBB3_738:                              ;   in Loop: Header=BB3_732 Depth=2
	s_mov_b64 s[0:1], s[14:15]
	s_mov_b32 s24, 0
	s_cbranch_execnz .LBB3_740
.LBB3_739:                              ;   in Loop: Header=BB3_732 Depth=2
	global_load_dwordx2 v[11:12], v2, s[14:15]
	s_add_i32 s24, s18, -8
.LBB3_740:                              ;   in Loop: Header=BB3_732 Depth=2
	s_add_u32 s20, s0, 8
	s_addc_u32 s21, s1, 0
	s_cmp_gt_u32 s24, 7
	s_cbranch_scc1 .LBB3_744
; %bb.741:                              ;   in Loop: Header=BB3_732 Depth=2
	s_cmp_eq_u32 s24, 0
	s_cbranch_scc1 .LBB3_745
; %bb.742:                              ;   in Loop: Header=BB3_732 Depth=2
	v_mov_b32_e32 v13, 0
	s_mov_b64 s[20:21], 0
	v_mov_b32_e32 v14, 0
	s_mov_b64 s[22:23], 0
.LBB3_743:                              ;   Parent Loop BB3_5 Depth=1
                                        ;     Parent Loop BB3_732 Depth=2
                                        ; =>    This Inner Loop Header: Depth=3
	s_add_u32 s26, s0, s22
	s_addc_u32 s27, s1, s23
	global_load_ubyte v1, v2, s[26:27]
	s_add_u32 s22, s22, 1
	s_addc_u32 s23, s23, 0
	s_waitcnt vmcnt(0)
	v_and_b32_e32 v1, 0xffff, v1
	v_lshlrev_b64 v[3:4], s20, v[1:2]
	s_add_u32 s20, s20, 8
	s_addc_u32 s21, s21, 0
	v_or_b32_e32 v13, v3, v13
	s_cmp_lg_u32 s24, s22
	v_or_b32_e32 v14, v4, v14
	s_cbranch_scc1 .LBB3_743
	s_branch .LBB3_746
.LBB3_744:                              ;   in Loop: Header=BB3_732 Depth=2
                                        ; implicit-def: $vgpr13_vgpr14
	s_mov_b32 s25, 0
	s_branch .LBB3_747
.LBB3_745:                              ;   in Loop: Header=BB3_732 Depth=2
	v_mov_b32_e32 v13, 0
	v_mov_b32_e32 v14, 0
.LBB3_746:                              ;   in Loop: Header=BB3_732 Depth=2
	s_mov_b64 s[20:21], s[0:1]
	s_mov_b32 s25, 0
	s_cbranch_execnz .LBB3_748
.LBB3_747:                              ;   in Loop: Header=BB3_732 Depth=2
	global_load_dwordx2 v[13:14], v2, s[0:1]
	s_add_i32 s25, s24, -8
.LBB3_748:                              ;   in Loop: Header=BB3_732 Depth=2
	s_add_u32 s0, s20, 8
	s_addc_u32 s1, s21, 0
	s_cmp_gt_u32 s25, 7
	s_cbranch_scc1 .LBB3_752
; %bb.749:                              ;   in Loop: Header=BB3_732 Depth=2
	s_cmp_eq_u32 s25, 0
	s_cbranch_scc1 .LBB3_753
; %bb.750:                              ;   in Loop: Header=BB3_732 Depth=2
	v_mov_b32_e32 v15, 0
	s_mov_b64 s[0:1], 0
	v_mov_b32_e32 v16, 0
	s_mov_b64 s[22:23], 0
.LBB3_751:                              ;   Parent Loop BB3_5 Depth=1
                                        ;     Parent Loop BB3_732 Depth=2
                                        ; =>    This Inner Loop Header: Depth=3
	s_add_u32 s26, s20, s22
	s_addc_u32 s27, s21, s23
	global_load_ubyte v1, v2, s[26:27]
	s_add_u32 s22, s22, 1
	s_addc_u32 s23, s23, 0
	s_waitcnt vmcnt(0)
	v_and_b32_e32 v1, 0xffff, v1
	v_lshlrev_b64 v[3:4], s0, v[1:2]
	s_add_u32 s0, s0, 8
	s_addc_u32 s1, s1, 0
	v_or_b32_e32 v15, v3, v15
	s_cmp_lg_u32 s25, s22
	v_or_b32_e32 v16, v4, v16
	s_cbranch_scc1 .LBB3_751
	s_branch .LBB3_754
.LBB3_752:                              ;   in Loop: Header=BB3_732 Depth=2
	s_mov_b32 s24, 0
	s_branch .LBB3_755
.LBB3_753:                              ;   in Loop: Header=BB3_732 Depth=2
	v_mov_b32_e32 v15, 0
	v_mov_b32_e32 v16, 0
.LBB3_754:                              ;   in Loop: Header=BB3_732 Depth=2
	s_mov_b64 s[0:1], s[20:21]
	s_mov_b32 s24, 0
	s_cbranch_execnz .LBB3_756
.LBB3_755:                              ;   in Loop: Header=BB3_732 Depth=2
	global_load_dwordx2 v[15:16], v2, s[20:21]
	s_add_i32 s24, s25, -8
.LBB3_756:                              ;   in Loop: Header=BB3_732 Depth=2
	s_add_u32 s20, s0, 8
	s_addc_u32 s21, s1, 0
	s_cmp_gt_u32 s24, 7
	s_cbranch_scc1 .LBB3_760
; %bb.757:                              ;   in Loop: Header=BB3_732 Depth=2
	s_cmp_eq_u32 s24, 0
	s_cbranch_scc1 .LBB3_761
; %bb.758:                              ;   in Loop: Header=BB3_732 Depth=2
	v_mov_b32_e32 v17, 0
	s_mov_b64 s[20:21], 0
	v_mov_b32_e32 v18, 0
	s_mov_b64 s[22:23], 0
.LBB3_759:                              ;   Parent Loop BB3_5 Depth=1
                                        ;     Parent Loop BB3_732 Depth=2
                                        ; =>    This Inner Loop Header: Depth=3
	s_add_u32 s26, s0, s22
	s_addc_u32 s27, s1, s23
	global_load_ubyte v1, v2, s[26:27]
	s_add_u32 s22, s22, 1
	s_addc_u32 s23, s23, 0
	s_waitcnt vmcnt(0)
	v_and_b32_e32 v1, 0xffff, v1
	v_lshlrev_b64 v[3:4], s20, v[1:2]
	s_add_u32 s20, s20, 8
	s_addc_u32 s21, s21, 0
	v_or_b32_e32 v17, v3, v17
	s_cmp_lg_u32 s24, s22
	v_or_b32_e32 v18, v4, v18
	s_cbranch_scc1 .LBB3_759
	s_branch .LBB3_762
.LBB3_760:                              ;   in Loop: Header=BB3_732 Depth=2
                                        ; implicit-def: $vgpr17_vgpr18
	s_mov_b32 s25, 0
	s_branch .LBB3_763
.LBB3_761:                              ;   in Loop: Header=BB3_732 Depth=2
	v_mov_b32_e32 v17, 0
	v_mov_b32_e32 v18, 0
.LBB3_762:                              ;   in Loop: Header=BB3_732 Depth=2
	s_mov_b64 s[20:21], s[0:1]
	s_mov_b32 s25, 0
	s_cbranch_execnz .LBB3_764
.LBB3_763:                              ;   in Loop: Header=BB3_732 Depth=2
	global_load_dwordx2 v[17:18], v2, s[0:1]
	s_add_i32 s25, s24, -8
.LBB3_764:                              ;   in Loop: Header=BB3_732 Depth=2
	s_add_u32 s0, s20, 8
	s_addc_u32 s1, s21, 0
	s_cmp_gt_u32 s25, 7
	s_cbranch_scc1 .LBB3_768
; %bb.765:                              ;   in Loop: Header=BB3_732 Depth=2
	s_cmp_eq_u32 s25, 0
	s_cbranch_scc1 .LBB3_769
; %bb.766:                              ;   in Loop: Header=BB3_732 Depth=2
	v_mov_b32_e32 v19, 0
	s_mov_b64 s[0:1], 0
	v_mov_b32_e32 v20, 0
	s_mov_b64 s[22:23], 0
.LBB3_767:                              ;   Parent Loop BB3_5 Depth=1
                                        ;     Parent Loop BB3_732 Depth=2
                                        ; =>    This Inner Loop Header: Depth=3
	s_add_u32 s26, s20, s22
	s_addc_u32 s27, s21, s23
	global_load_ubyte v1, v2, s[26:27]
	s_add_u32 s22, s22, 1
	s_addc_u32 s23, s23, 0
	s_waitcnt vmcnt(0)
	v_and_b32_e32 v1, 0xffff, v1
	v_lshlrev_b64 v[3:4], s0, v[1:2]
	s_add_u32 s0, s0, 8
	s_addc_u32 s1, s1, 0
	v_or_b32_e32 v19, v3, v19
	s_cmp_lg_u32 s25, s22
	v_or_b32_e32 v20, v4, v20
	s_cbranch_scc1 .LBB3_767
	s_branch .LBB3_770
.LBB3_768:                              ;   in Loop: Header=BB3_732 Depth=2
	s_mov_b32 s24, 0
	s_branch .LBB3_771
.LBB3_769:                              ;   in Loop: Header=BB3_732 Depth=2
	v_mov_b32_e32 v19, 0
	v_mov_b32_e32 v20, 0
.LBB3_770:                              ;   in Loop: Header=BB3_732 Depth=2
	s_mov_b64 s[0:1], s[20:21]
	s_mov_b32 s24, 0
	s_cbranch_execnz .LBB3_772
.LBB3_771:                              ;   in Loop: Header=BB3_732 Depth=2
	global_load_dwordx2 v[19:20], v2, s[20:21]
	s_add_i32 s24, s25, -8
.LBB3_772:                              ;   in Loop: Header=BB3_732 Depth=2
	s_add_u32 s20, s0, 8
	s_addc_u32 s21, s1, 0
	s_cmp_gt_u32 s24, 7
	s_cbranch_scc1 .LBB3_776
; %bb.773:                              ;   in Loop: Header=BB3_732 Depth=2
	s_cmp_eq_u32 s24, 0
	s_cbranch_scc1 .LBB3_777
; %bb.774:                              ;   in Loop: Header=BB3_732 Depth=2
	v_mov_b32_e32 v21, 0
	s_mov_b64 s[20:21], 0
	v_mov_b32_e32 v22, 0
	s_mov_b64 s[22:23], 0
.LBB3_775:                              ;   Parent Loop BB3_5 Depth=1
                                        ;     Parent Loop BB3_732 Depth=2
                                        ; =>    This Inner Loop Header: Depth=3
	s_add_u32 s26, s0, s22
	s_addc_u32 s27, s1, s23
	global_load_ubyte v1, v2, s[26:27]
	s_add_u32 s22, s22, 1
	s_addc_u32 s23, s23, 0
	s_waitcnt vmcnt(0)
	v_and_b32_e32 v1, 0xffff, v1
	v_lshlrev_b64 v[3:4], s20, v[1:2]
	s_add_u32 s20, s20, 8
	s_addc_u32 s21, s21, 0
	v_or_b32_e32 v21, v3, v21
	s_cmp_lg_u32 s24, s22
	v_or_b32_e32 v22, v4, v22
	s_cbranch_scc1 .LBB3_775
	s_branch .LBB3_778
.LBB3_776:                              ;   in Loop: Header=BB3_732 Depth=2
                                        ; implicit-def: $vgpr21_vgpr22
	s_mov_b32 s25, 0
	s_branch .LBB3_779
.LBB3_777:                              ;   in Loop: Header=BB3_732 Depth=2
	v_mov_b32_e32 v21, 0
	v_mov_b32_e32 v22, 0
.LBB3_778:                              ;   in Loop: Header=BB3_732 Depth=2
	s_mov_b64 s[20:21], s[0:1]
	s_mov_b32 s25, 0
	s_cbranch_execnz .LBB3_780
.LBB3_779:                              ;   in Loop: Header=BB3_732 Depth=2
	global_load_dwordx2 v[21:22], v2, s[0:1]
	s_add_i32 s25, s24, -8
.LBB3_780:                              ;   in Loop: Header=BB3_732 Depth=2
	s_cmp_gt_u32 s25, 7
	s_cbranch_scc1 .LBB3_784
; %bb.781:                              ;   in Loop: Header=BB3_732 Depth=2
	s_cmp_eq_u32 s25, 0
	s_cbranch_scc1 .LBB3_785
; %bb.782:                              ;   in Loop: Header=BB3_732 Depth=2
	v_mov_b32_e32 v23, 0
	s_mov_b64 s[0:1], 0
	v_mov_b32_e32 v24, 0
	s_mov_b64 s[22:23], s[20:21]
.LBB3_783:                              ;   Parent Loop BB3_5 Depth=1
                                        ;     Parent Loop BB3_732 Depth=2
                                        ; =>    This Inner Loop Header: Depth=3
	global_load_ubyte v1, v2, s[22:23]
	s_add_i32 s25, s25, -1
	s_waitcnt vmcnt(0)
	v_and_b32_e32 v1, 0xffff, v1
	v_lshlrev_b64 v[3:4], s0, v[1:2]
	s_add_u32 s0, s0, 8
	s_addc_u32 s1, s1, 0
	s_add_u32 s22, s22, 1
	s_addc_u32 s23, s23, 0
	v_or_b32_e32 v23, v3, v23
	s_cmp_lg_u32 s25, 0
	v_or_b32_e32 v24, v4, v24
	s_cbranch_scc1 .LBB3_783
	s_branch .LBB3_786
.LBB3_784:                              ;   in Loop: Header=BB3_732 Depth=2
	s_branch .LBB3_787
.LBB3_785:                              ;   in Loop: Header=BB3_732 Depth=2
	v_mov_b32_e32 v23, 0
	v_mov_b32_e32 v24, 0
.LBB3_786:                              ;   in Loop: Header=BB3_732 Depth=2
	s_cbranch_execnz .LBB3_788
.LBB3_787:                              ;   in Loop: Header=BB3_732 Depth=2
	global_load_dwordx2 v[23:24], v2, s[20:21]
.LBB3_788:                              ;   in Loop: Header=BB3_732 Depth=2
	v_readfirstlane_b32 s0, v36
	v_mov_b32_e32 v3, 0
	v_mov_b32_e32 v4, 0
	v_cmp_eq_u32_e64 s[0:1], s0, v36
	s_and_saveexec_b64 s[20:21], s[0:1]
	s_cbranch_execz .LBB3_794
; %bb.789:                              ;   in Loop: Header=BB3_732 Depth=2
	global_load_dwordx2 v[27:28], v2, s[2:3] offset:24 glc
	s_waitcnt vmcnt(0)
	buffer_wbinvl1_vol
	global_load_dwordx2 v[3:4], v2, s[2:3] offset:40
	global_load_dwordx2 v[25:26], v2, s[2:3]
	s_waitcnt vmcnt(1)
	v_and_b32_e32 v1, v3, v27
	v_and_b32_e32 v3, v4, v28
	v_mul_lo_u32 v3, v3, 24
	v_mul_hi_u32 v4, v1, 24
	v_mul_lo_u32 v1, v1, 24
	v_add_u32_e32 v4, v4, v3
	s_waitcnt vmcnt(0)
	v_add_co_u32_e32 v3, vcc, v25, v1
	v_addc_co_u32_e32 v4, vcc, v26, v4, vcc
	global_load_dwordx2 v[25:26], v[3:4], off glc
	s_waitcnt vmcnt(0)
	global_atomic_cmpswap_x2 v[3:4], v2, v[25:28], s[2:3] offset:24 glc
	s_waitcnt vmcnt(0)
	buffer_wbinvl1_vol
	v_cmp_ne_u64_e32 vcc, v[3:4], v[27:28]
	s_and_saveexec_b64 s[22:23], vcc
	s_cbranch_execz .LBB3_793
; %bb.790:                              ;   in Loop: Header=BB3_732 Depth=2
	s_mov_b64 s[24:25], 0
.LBB3_791:                              ;   Parent Loop BB3_5 Depth=1
                                        ;     Parent Loop BB3_732 Depth=2
                                        ; =>    This Inner Loop Header: Depth=3
	s_sleep 1
	global_load_dwordx2 v[25:26], v2, s[2:3] offset:40
	global_load_dwordx2 v[33:34], v2, s[2:3]
	v_mov_b32_e32 v28, v4
	v_mov_b32_e32 v27, v3
	s_waitcnt vmcnt(1)
	v_and_b32_e32 v1, v25, v27
	s_waitcnt vmcnt(0)
	v_mad_u64_u32 v[3:4], s[26:27], v1, 24, v[33:34]
	v_and_b32_e32 v25, v26, v28
	v_mov_b32_e32 v1, v4
	v_mad_u64_u32 v[25:26], s[26:27], v25, 24, v[1:2]
	v_mov_b32_e32 v4, v25
	global_load_dwordx2 v[25:26], v[3:4], off glc
	s_waitcnt vmcnt(0)
	global_atomic_cmpswap_x2 v[3:4], v2, v[25:28], s[2:3] offset:24 glc
	s_waitcnt vmcnt(0)
	buffer_wbinvl1_vol
	v_cmp_eq_u64_e32 vcc, v[3:4], v[27:28]
	s_or_b64 s[24:25], vcc, s[24:25]
	s_andn2_b64 exec, exec, s[24:25]
	s_cbranch_execnz .LBB3_791
; %bb.792:                              ;   in Loop: Header=BB3_732 Depth=2
	s_or_b64 exec, exec, s[24:25]
.LBB3_793:                              ;   in Loop: Header=BB3_732 Depth=2
	s_or_b64 exec, exec, s[22:23]
.LBB3_794:                              ;   in Loop: Header=BB3_732 Depth=2
	s_or_b64 exec, exec, s[20:21]
	global_load_dwordx2 v[33:34], v2, s[2:3] offset:40
	global_load_dwordx4 v[25:28], v2, s[2:3]
	v_readfirstlane_b32 s21, v4
	v_readfirstlane_b32 s20, v3
	s_mov_b64 s[22:23], exec
	s_waitcnt vmcnt(1)
	v_readfirstlane_b32 s24, v33
	v_readfirstlane_b32 s25, v34
	s_and_b64 s[24:25], s[24:25], s[20:21]
	s_mul_i32 s26, s25, 24
	s_mul_hi_u32 s27, s24, 24
	s_mul_i32 s33, s24, 24
	s_add_i32 s26, s27, s26
	v_mov_b32_e32 v1, s26
	s_waitcnt vmcnt(0)
	v_add_co_u32_e32 v33, vcc, s33, v25
	v_addc_co_u32_e32 v34, vcc, v26, v1, vcc
	s_and_saveexec_b64 s[26:27], s[0:1]
	s_cbranch_execz .LBB3_796
; %bb.795:                              ;   in Loop: Header=BB3_732 Depth=2
	v_mov_b32_e32 v3, s22
	v_mov_b32_e32 v4, s23
	global_store_dwordx4 v[33:34], v[3:6], off offset:8
.LBB3_796:                              ;   in Loop: Header=BB3_732 Depth=2
	s_or_b64 exec, exec, s[26:27]
	s_lshl_b64 s[22:23], s[24:25], 12
	v_mov_b32_e32 v1, s23
	v_add_co_u32_e32 v27, vcc, s22, v27
	v_addc_co_u32_e32 v28, vcc, v28, v1, vcc
	v_cmp_lt_u64_e64 vcc, s[16:17], 57
	s_lshl_b32 s22, s18, 2
	v_cndmask_b32_e32 v1, 0, v35, vcc
	s_add_i32 s22, s22, 28
	v_and_b32_e32 v3, 0xffffff1f, v9
	s_and_b32 s22, s22, 0x1e0
	v_or_b32_e32 v1, v3, v1
	v_or_b32_e32 v9, s22, v1
	v_readfirstlane_b32 s22, v27
	v_readfirstlane_b32 s23, v28
	s_nop 4
	global_store_dwordx4 v38, v[9:12], s[22:23]
	global_store_dwordx4 v38, v[13:16], s[22:23] offset:16
	global_store_dwordx4 v38, v[17:20], s[22:23] offset:32
	;; [unrolled: 1-line block ×3, first 2 shown]
	s_and_saveexec_b64 s[22:23], s[0:1]
	s_cbranch_execz .LBB3_804
; %bb.797:                              ;   in Loop: Header=BB3_732 Depth=2
	global_load_dwordx2 v[13:14], v2, s[2:3] offset:32 glc
	global_load_dwordx2 v[3:4], v2, s[2:3] offset:40
	v_mov_b32_e32 v11, s20
	v_mov_b32_e32 v12, s21
	s_waitcnt vmcnt(0)
	v_readfirstlane_b32 s24, v3
	v_readfirstlane_b32 s25, v4
	s_and_b64 s[24:25], s[24:25], s[20:21]
	s_mul_i32 s25, s25, 24
	s_mul_hi_u32 s26, s24, 24
	s_mul_i32 s24, s24, 24
	s_add_i32 s25, s26, s25
	v_mov_b32_e32 v1, s25
	v_add_co_u32_e32 v3, vcc, s24, v25
	v_addc_co_u32_e32 v4, vcc, v26, v1, vcc
	global_store_dwordx2 v[3:4], v[13:14], off
	s_waitcnt vmcnt(0)
	global_atomic_cmpswap_x2 v[11:12], v2, v[11:14], s[2:3] offset:32 glc
	s_waitcnt vmcnt(0)
	v_cmp_ne_u64_e32 vcc, v[11:12], v[13:14]
	s_and_saveexec_b64 s[24:25], vcc
	s_cbranch_execz .LBB3_800
; %bb.798:                              ;   in Loop: Header=BB3_732 Depth=2
	s_mov_b64 s[26:27], 0
.LBB3_799:                              ;   Parent Loop BB3_5 Depth=1
                                        ;     Parent Loop BB3_732 Depth=2
                                        ; =>    This Inner Loop Header: Depth=3
	s_sleep 1
	global_store_dwordx2 v[3:4], v[11:12], off
	v_mov_b32_e32 v9, s20
	v_mov_b32_e32 v10, s21
	s_waitcnt vmcnt(0)
	global_atomic_cmpswap_x2 v[9:10], v2, v[9:12], s[2:3] offset:32 glc
	s_waitcnt vmcnt(0)
	v_cmp_eq_u64_e32 vcc, v[9:10], v[11:12]
	v_mov_b32_e32 v12, v10
	s_or_b64 s[26:27], vcc, s[26:27]
	v_mov_b32_e32 v11, v9
	s_andn2_b64 exec, exec, s[26:27]
	s_cbranch_execnz .LBB3_799
.LBB3_800:                              ;   in Loop: Header=BB3_732 Depth=2
	s_or_b64 exec, exec, s[24:25]
	global_load_dwordx2 v[3:4], v2, s[2:3] offset:16
	s_mov_b64 s[26:27], exec
	v_mbcnt_lo_u32_b32 v1, s26, 0
	v_mbcnt_hi_u32_b32 v1, s27, v1
	v_cmp_eq_u32_e32 vcc, 0, v1
	s_and_saveexec_b64 s[24:25], vcc
	s_cbranch_execz .LBB3_802
; %bb.801:                              ;   in Loop: Header=BB3_732 Depth=2
	s_bcnt1_i32_b64 s26, s[26:27]
	v_mov_b32_e32 v1, s26
	s_waitcnt vmcnt(0)
	global_atomic_add_x2 v[3:4], v[1:2], off offset:8
.LBB3_802:                              ;   in Loop: Header=BB3_732 Depth=2
	s_or_b64 exec, exec, s[24:25]
	s_waitcnt vmcnt(0)
	global_load_dwordx2 v[9:10], v[3:4], off offset:16
	s_waitcnt vmcnt(0)
	v_cmp_eq_u64_e32 vcc, 0, v[9:10]
	s_cbranch_vccnz .LBB3_804
; %bb.803:                              ;   in Loop: Header=BB3_732 Depth=2
	global_load_dword v1, v[3:4], off offset:24
	s_waitcnt vmcnt(0)
	v_readfirstlane_b32 s24, v1
	s_and_b32 m0, s24, 0xffffff
	global_store_dwordx2 v[9:10], v[1:2], off
	s_sendmsg sendmsg(MSG_INTERRUPT)
.LBB3_804:                              ;   in Loop: Header=BB3_732 Depth=2
	s_or_b64 exec, exec, s[22:23]
	v_add_co_u32_e32 v3, vcc, v27, v38
	v_addc_co_u32_e32 v4, vcc, 0, v28, vcc
	s_branch .LBB3_808
.LBB3_805:                              ;   in Loop: Header=BB3_808 Depth=3
	s_or_b64 exec, exec, s[22:23]
	v_readfirstlane_b32 s22, v1
	s_cmp_eq_u32 s22, 0
	s_cbranch_scc1 .LBB3_807
; %bb.806:                              ;   in Loop: Header=BB3_808 Depth=3
	s_sleep 1
	s_cbranch_execnz .LBB3_808
	s_branch .LBB3_810
.LBB3_807:                              ;   in Loop: Header=BB3_732 Depth=2
	s_branch .LBB3_810
.LBB3_808:                              ;   Parent Loop BB3_5 Depth=1
                                        ;     Parent Loop BB3_732 Depth=2
                                        ; =>    This Inner Loop Header: Depth=3
	v_mov_b32_e32 v1, 1
	s_and_saveexec_b64 s[22:23], s[0:1]
	s_cbranch_execz .LBB3_805
; %bb.809:                              ;   in Loop: Header=BB3_808 Depth=3
	global_load_dword v1, v[33:34], off offset:20 glc
	s_waitcnt vmcnt(0)
	buffer_wbinvl1_vol
	v_and_b32_e32 v1, 1, v1
	s_branch .LBB3_805
.LBB3_810:                              ;   in Loop: Header=BB3_732 Depth=2
	global_load_dwordx2 v[9:10], v[3:4], off
	s_and_saveexec_b64 s[22:23], s[0:1]
	s_cbranch_execz .LBB3_731
; %bb.811:                              ;   in Loop: Header=BB3_732 Depth=2
	global_load_dwordx2 v[3:4], v2, s[2:3] offset:40
	global_load_dwordx2 v[15:16], v2, s[2:3] offset:24 glc
	global_load_dwordx2 v[11:12], v2, s[2:3]
	s_waitcnt vmcnt(2)
	v_readfirstlane_b32 s24, v3
	v_readfirstlane_b32 s25, v4
	s_add_u32 s26, s24, 1
	s_addc_u32 s27, s25, 0
	s_add_u32 s0, s26, s20
	s_addc_u32 s1, s27, s21
	s_cmp_eq_u64 s[0:1], 0
	s_cselect_b32 s1, s27, s1
	s_cselect_b32 s0, s26, s0
	s_and_b64 s[20:21], s[0:1], s[24:25]
	s_mul_i32 s21, s21, 24
	s_mul_hi_u32 s24, s20, 24
	s_mul_i32 s20, s20, 24
	s_add_i32 s21, s24, s21
	v_mov_b32_e32 v1, s21
	s_waitcnt vmcnt(0)
	v_add_co_u32_e32 v3, vcc, s20, v11
	v_addc_co_u32_e32 v4, vcc, v12, v1, vcc
	v_mov_b32_e32 v13, s0
	global_store_dwordx2 v[3:4], v[15:16], off
	v_mov_b32_e32 v14, s1
	s_waitcnt vmcnt(0)
	global_atomic_cmpswap_x2 v[13:14], v2, v[13:16], s[2:3] offset:24 glc
	s_waitcnt vmcnt(0)
	v_cmp_ne_u64_e32 vcc, v[13:14], v[15:16]
	s_and_b64 exec, exec, vcc
	s_cbranch_execz .LBB3_731
; %bb.812:                              ;   in Loop: Header=BB3_732 Depth=2
	s_mov_b64 s[20:21], 0
.LBB3_813:                              ;   Parent Loop BB3_5 Depth=1
                                        ;     Parent Loop BB3_732 Depth=2
                                        ; =>    This Inner Loop Header: Depth=3
	s_sleep 1
	global_store_dwordx2 v[3:4], v[13:14], off
	v_mov_b32_e32 v11, s0
	v_mov_b32_e32 v12, s1
	s_waitcnt vmcnt(0)
	global_atomic_cmpswap_x2 v[11:12], v2, v[11:14], s[2:3] offset:24 glc
	s_waitcnt vmcnt(0)
	v_cmp_eq_u64_e32 vcc, v[11:12], v[13:14]
	v_mov_b32_e32 v14, v12
	s_or_b64 s[20:21], vcc, s[20:21]
	v_mov_b32_e32 v13, v11
	s_andn2_b64 exec, exec, s[20:21]
	s_cbranch_execnz .LBB3_813
	s_branch .LBB3_731
.LBB3_814:                              ;   in Loop: Header=BB3_5 Depth=1
	s_branch .LBB3_871
.LBB3_815:                              ;   in Loop: Header=BB3_5 Depth=1
                                        ; implicit-def: $vgpr7_vgpr8
	s_cbranch_execz .LBB3_729
; %bb.816:                              ;   in Loop: Header=BB3_5 Depth=1
	v_readfirstlane_b32 s0, v36
	v_mov_b32_e32 v3, 0
	v_mov_b32_e32 v4, 0
	v_cmp_eq_u32_e64 s[0:1], s0, v36
	s_and_saveexec_b64 s[14:15], s[0:1]
	s_cbranch_execz .LBB3_822
; %bb.817:                              ;   in Loop: Header=BB3_5 Depth=1
	global_load_dwordx2 v[9:10], v2, s[2:3] offset:24 glc
	s_waitcnt vmcnt(0)
	buffer_wbinvl1_vol
	global_load_dwordx2 v[3:4], v2, s[2:3] offset:40
	global_load_dwordx2 v[7:8], v2, s[2:3]
	s_waitcnt vmcnt(1)
	v_and_b32_e32 v1, v3, v9
	v_and_b32_e32 v3, v4, v10
	v_mul_lo_u32 v3, v3, 24
	v_mul_hi_u32 v4, v1, 24
	v_mul_lo_u32 v1, v1, 24
	v_add_u32_e32 v4, v4, v3
	s_waitcnt vmcnt(0)
	v_add_co_u32_e32 v3, vcc, v7, v1
	v_addc_co_u32_e32 v4, vcc, v8, v4, vcc
	global_load_dwordx2 v[7:8], v[3:4], off glc
	s_waitcnt vmcnt(0)
	global_atomic_cmpswap_x2 v[3:4], v2, v[7:10], s[2:3] offset:24 glc
	s_waitcnt vmcnt(0)
	buffer_wbinvl1_vol
	v_cmp_ne_u64_e32 vcc, v[3:4], v[9:10]
	s_and_saveexec_b64 s[16:17], vcc
	s_cbranch_execz .LBB3_821
; %bb.818:                              ;   in Loop: Header=BB3_5 Depth=1
	s_mov_b64 s[18:19], 0
.LBB3_819:                              ;   Parent Loop BB3_5 Depth=1
                                        ; =>  This Inner Loop Header: Depth=2
	s_sleep 1
	global_load_dwordx2 v[7:8], v2, s[2:3] offset:40
	global_load_dwordx2 v[13:14], v2, s[2:3]
	v_mov_b32_e32 v10, v4
	v_mov_b32_e32 v9, v3
	s_waitcnt vmcnt(1)
	v_and_b32_e32 v1, v7, v9
	s_waitcnt vmcnt(0)
	v_mad_u64_u32 v[3:4], s[20:21], v1, 24, v[13:14]
	v_and_b32_e32 v7, v8, v10
	v_mov_b32_e32 v1, v4
	v_mad_u64_u32 v[7:8], s[20:21], v7, 24, v[1:2]
	v_mov_b32_e32 v4, v7
	global_load_dwordx2 v[7:8], v[3:4], off glc
	s_waitcnt vmcnt(0)
	global_atomic_cmpswap_x2 v[3:4], v2, v[7:10], s[2:3] offset:24 glc
	s_waitcnt vmcnt(0)
	buffer_wbinvl1_vol
	v_cmp_eq_u64_e32 vcc, v[3:4], v[9:10]
	s_or_b64 s[18:19], vcc, s[18:19]
	s_andn2_b64 exec, exec, s[18:19]
	s_cbranch_execnz .LBB3_819
; %bb.820:                              ;   in Loop: Header=BB3_5 Depth=1
	s_or_b64 exec, exec, s[18:19]
.LBB3_821:                              ;   in Loop: Header=BB3_5 Depth=1
	s_or_b64 exec, exec, s[16:17]
.LBB3_822:                              ;   in Loop: Header=BB3_5 Depth=1
	s_or_b64 exec, exec, s[14:15]
	global_load_dwordx2 v[13:14], v2, s[2:3] offset:40
	global_load_dwordx4 v[7:10], v2, s[2:3]
	v_readfirstlane_b32 s15, v4
	v_readfirstlane_b32 s14, v3
	s_mov_b64 s[16:17], exec
	s_waitcnt vmcnt(1)
	v_readfirstlane_b32 s18, v13
	v_readfirstlane_b32 s19, v14
	s_and_b64 s[18:19], s[18:19], s[14:15]
	s_mul_i32 s20, s19, 24
	s_mul_hi_u32 s21, s18, 24
	s_mul_i32 s22, s18, 24
	s_add_i32 s20, s21, s20
	v_mov_b32_e32 v1, s20
	s_waitcnt vmcnt(0)
	v_add_co_u32_e32 v15, vcc, s22, v7
	v_addc_co_u32_e32 v16, vcc, v8, v1, vcc
	s_and_saveexec_b64 s[20:21], s[0:1]
	s_cbranch_execz .LBB3_824
; %bb.823:                              ;   in Loop: Header=BB3_5 Depth=1
	v_mov_b32_e32 v3, s16
	v_mov_b32_e32 v4, s17
	global_store_dwordx4 v[15:16], v[3:6], off offset:8
.LBB3_824:                              ;   in Loop: Header=BB3_5 Depth=1
	s_or_b64 exec, exec, s[20:21]
	s_lshl_b64 s[16:17], s[18:19], 12
	v_mov_b32_e32 v1, s17
	v_add_co_u32_e32 v17, vcc, s16, v9
	v_addc_co_u32_e32 v18, vcc, v10, v1, vcc
	v_and_or_b32 v11, v11, s29, 32
	v_mov_b32_e32 v13, v2
	v_mov_b32_e32 v14, v2
	v_readfirstlane_b32 s16, v17
	v_readfirstlane_b32 s17, v18
	s_nop 4
	global_store_dwordx4 v38, v[11:14], s[16:17]
	s_nop 0
	v_mov_b32_e32 v12, s11
	v_mov_b32_e32 v11, s10
	;; [unrolled: 1-line block ×4, first 2 shown]
	global_store_dwordx4 v38, v[9:12], s[16:17] offset:16
	global_store_dwordx4 v38, v[9:12], s[16:17] offset:32
	global_store_dwordx4 v38, v[9:12], s[16:17] offset:48
	s_and_saveexec_b64 s[16:17], s[0:1]
	s_cbranch_execz .LBB3_832
; %bb.825:                              ;   in Loop: Header=BB3_5 Depth=1
	global_load_dwordx2 v[11:12], v2, s[2:3] offset:32 glc
	global_load_dwordx2 v[3:4], v2, s[2:3] offset:40
	v_mov_b32_e32 v9, s14
	v_mov_b32_e32 v10, s15
	s_waitcnt vmcnt(0)
	v_readfirstlane_b32 s18, v3
	v_readfirstlane_b32 s19, v4
	s_and_b64 s[18:19], s[18:19], s[14:15]
	s_mul_i32 s19, s19, 24
	s_mul_hi_u32 s20, s18, 24
	s_mul_i32 s18, s18, 24
	s_add_i32 s19, s20, s19
	v_mov_b32_e32 v1, s19
	v_add_co_u32_e32 v3, vcc, s18, v7
	v_addc_co_u32_e32 v4, vcc, v8, v1, vcc
	global_store_dwordx2 v[3:4], v[11:12], off
	s_waitcnt vmcnt(0)
	global_atomic_cmpswap_x2 v[9:10], v2, v[9:12], s[2:3] offset:32 glc
	s_waitcnt vmcnt(0)
	v_cmp_ne_u64_e32 vcc, v[9:10], v[11:12]
	s_and_saveexec_b64 s[18:19], vcc
	s_cbranch_execz .LBB3_828
; %bb.826:                              ;   in Loop: Header=BB3_5 Depth=1
	s_mov_b64 s[20:21], 0
.LBB3_827:                              ;   Parent Loop BB3_5 Depth=1
                                        ; =>  This Inner Loop Header: Depth=2
	s_sleep 1
	global_store_dwordx2 v[3:4], v[9:10], off
	v_mov_b32_e32 v7, s14
	v_mov_b32_e32 v8, s15
	s_waitcnt vmcnt(0)
	global_atomic_cmpswap_x2 v[7:8], v2, v[7:10], s[2:3] offset:32 glc
	s_waitcnt vmcnt(0)
	v_cmp_eq_u64_e32 vcc, v[7:8], v[9:10]
	v_mov_b32_e32 v10, v8
	s_or_b64 s[20:21], vcc, s[20:21]
	v_mov_b32_e32 v9, v7
	s_andn2_b64 exec, exec, s[20:21]
	s_cbranch_execnz .LBB3_827
.LBB3_828:                              ;   in Loop: Header=BB3_5 Depth=1
	s_or_b64 exec, exec, s[18:19]
	global_load_dwordx2 v[3:4], v2, s[2:3] offset:16
	s_mov_b64 s[20:21], exec
	v_mbcnt_lo_u32_b32 v1, s20, 0
	v_mbcnt_hi_u32_b32 v1, s21, v1
	v_cmp_eq_u32_e32 vcc, 0, v1
	s_and_saveexec_b64 s[18:19], vcc
	s_cbranch_execz .LBB3_830
; %bb.829:                              ;   in Loop: Header=BB3_5 Depth=1
	s_bcnt1_i32_b64 s20, s[20:21]
	v_mov_b32_e32 v1, s20
	s_waitcnt vmcnt(0)
	global_atomic_add_x2 v[3:4], v[1:2], off offset:8
.LBB3_830:                              ;   in Loop: Header=BB3_5 Depth=1
	s_or_b64 exec, exec, s[18:19]
	s_waitcnt vmcnt(0)
	global_load_dwordx2 v[7:8], v[3:4], off offset:16
	s_waitcnt vmcnt(0)
	v_cmp_eq_u64_e32 vcc, 0, v[7:8]
	s_cbranch_vccnz .LBB3_832
; %bb.831:                              ;   in Loop: Header=BB3_5 Depth=1
	global_load_dword v1, v[3:4], off offset:24
	s_waitcnt vmcnt(0)
	v_readfirstlane_b32 s18, v1
	s_and_b32 m0, s18, 0xffffff
	global_store_dwordx2 v[7:8], v[1:2], off
	s_sendmsg sendmsg(MSG_INTERRUPT)
.LBB3_832:                              ;   in Loop: Header=BB3_5 Depth=1
	s_or_b64 exec, exec, s[16:17]
	v_add_co_u32_e32 v3, vcc, v17, v38
	v_addc_co_u32_e32 v4, vcc, 0, v18, vcc
	s_branch .LBB3_836
.LBB3_833:                              ;   in Loop: Header=BB3_836 Depth=2
	s_or_b64 exec, exec, s[16:17]
	v_readfirstlane_b32 s16, v1
	s_cmp_eq_u32 s16, 0
	s_cbranch_scc1 .LBB3_835
; %bb.834:                              ;   in Loop: Header=BB3_836 Depth=2
	s_sleep 1
	s_cbranch_execnz .LBB3_836
	s_branch .LBB3_838
.LBB3_835:                              ;   in Loop: Header=BB3_5 Depth=1
	s_branch .LBB3_838
.LBB3_836:                              ;   Parent Loop BB3_5 Depth=1
                                        ; =>  This Inner Loop Header: Depth=2
	v_mov_b32_e32 v1, 1
	s_and_saveexec_b64 s[16:17], s[0:1]
	s_cbranch_execz .LBB3_833
; %bb.837:                              ;   in Loop: Header=BB3_836 Depth=2
	global_load_dword v1, v[15:16], off offset:20 glc
	s_waitcnt vmcnt(0)
	buffer_wbinvl1_vol
	v_and_b32_e32 v1, 1, v1
	s_branch .LBB3_833
.LBB3_838:                              ;   in Loop: Header=BB3_5 Depth=1
	global_load_dwordx2 v[7:8], v[3:4], off
	s_and_saveexec_b64 s[16:17], s[0:1]
	s_cbranch_execz .LBB3_842
; %bb.839:                              ;   in Loop: Header=BB3_5 Depth=1
	global_load_dwordx2 v[3:4], v2, s[2:3] offset:40
	global_load_dwordx2 v[13:14], v2, s[2:3] offset:24 glc
	global_load_dwordx2 v[9:10], v2, s[2:3]
	s_waitcnt vmcnt(2)
	v_readfirstlane_b32 s18, v3
	v_readfirstlane_b32 s19, v4
	s_add_u32 s20, s18, 1
	s_addc_u32 s21, s19, 0
	s_add_u32 s0, s20, s14
	s_addc_u32 s1, s21, s15
	s_cmp_eq_u64 s[0:1], 0
	s_cselect_b32 s1, s21, s1
	s_cselect_b32 s0, s20, s0
	s_and_b64 s[14:15], s[0:1], s[18:19]
	s_mul_i32 s15, s15, 24
	s_mul_hi_u32 s18, s14, 24
	s_mul_i32 s14, s14, 24
	s_add_i32 s15, s18, s15
	v_mov_b32_e32 v1, s15
	s_waitcnt vmcnt(0)
	v_add_co_u32_e32 v3, vcc, s14, v9
	v_addc_co_u32_e32 v4, vcc, v10, v1, vcc
	v_mov_b32_e32 v11, s0
	global_store_dwordx2 v[3:4], v[13:14], off
	v_mov_b32_e32 v12, s1
	s_waitcnt vmcnt(0)
	global_atomic_cmpswap_x2 v[11:12], v2, v[11:14], s[2:3] offset:24 glc
	s_waitcnt vmcnt(0)
	v_cmp_ne_u64_e32 vcc, v[11:12], v[13:14]
	s_and_b64 exec, exec, vcc
	s_cbranch_execz .LBB3_842
; %bb.840:                              ;   in Loop: Header=BB3_5 Depth=1
	s_mov_b64 s[14:15], 0
.LBB3_841:                              ;   Parent Loop BB3_5 Depth=1
                                        ; =>  This Inner Loop Header: Depth=2
	s_sleep 1
	global_store_dwordx2 v[3:4], v[11:12], off
	v_mov_b32_e32 v9, s0
	v_mov_b32_e32 v10, s1
	s_waitcnt vmcnt(0)
	global_atomic_cmpswap_x2 v[9:10], v2, v[9:12], s[2:3] offset:24 glc
	s_waitcnt vmcnt(0)
	v_cmp_eq_u64_e32 vcc, v[9:10], v[11:12]
	v_mov_b32_e32 v12, v10
	s_or_b64 s[14:15], vcc, s[14:15]
	v_mov_b32_e32 v11, v9
	s_andn2_b64 exec, exec, s[14:15]
	s_cbranch_execnz .LBB3_841
.LBB3_842:                              ;   in Loop: Header=BB3_5 Depth=1
	s_or_b64 exec, exec, s[16:17]
	s_and_b64 vcc, exec, s[12:13]
	s_cbranch_vccnz .LBB3_730
.LBB3_843:                              ;   in Loop: Header=BB3_5 Depth=1
                                        ; implicit-def: $vgpr9_vgpr10
	s_cbranch_execz .LBB3_871
; %bb.844:                              ;   in Loop: Header=BB3_5 Depth=1
	v_readfirstlane_b32 s0, v36
	v_mov_b32_e32 v3, 0
	v_mov_b32_e32 v4, 0
	v_cmp_eq_u32_e64 s[0:1], s0, v36
	s_and_saveexec_b64 s[14:15], s[0:1]
	s_cbranch_execz .LBB3_850
; %bb.845:                              ;   in Loop: Header=BB3_5 Depth=1
	global_load_dwordx2 v[11:12], v2, s[2:3] offset:24 glc
	s_waitcnt vmcnt(0)
	buffer_wbinvl1_vol
	global_load_dwordx2 v[3:4], v2, s[2:3] offset:40
	global_load_dwordx2 v[9:10], v2, s[2:3]
	s_waitcnt vmcnt(1)
	v_and_b32_e32 v1, v3, v11
	v_and_b32_e32 v3, v4, v12
	v_mul_lo_u32 v3, v3, 24
	v_mul_hi_u32 v4, v1, 24
	v_mul_lo_u32 v1, v1, 24
	v_add_u32_e32 v4, v4, v3
	s_waitcnt vmcnt(0)
	v_add_co_u32_e32 v3, vcc, v9, v1
	v_addc_co_u32_e32 v4, vcc, v10, v4, vcc
	global_load_dwordx2 v[9:10], v[3:4], off glc
	s_waitcnt vmcnt(0)
	global_atomic_cmpswap_x2 v[3:4], v2, v[9:12], s[2:3] offset:24 glc
	s_waitcnt vmcnt(0)
	buffer_wbinvl1_vol
	v_cmp_ne_u64_e32 vcc, v[3:4], v[11:12]
	s_and_saveexec_b64 s[16:17], vcc
	s_cbranch_execz .LBB3_849
; %bb.846:                              ;   in Loop: Header=BB3_5 Depth=1
	s_mov_b64 s[18:19], 0
.LBB3_847:                              ;   Parent Loop BB3_5 Depth=1
                                        ; =>  This Inner Loop Header: Depth=2
	s_sleep 1
	global_load_dwordx2 v[9:10], v2, s[2:3] offset:40
	global_load_dwordx2 v[13:14], v2, s[2:3]
	v_mov_b32_e32 v12, v4
	v_mov_b32_e32 v11, v3
	s_waitcnt vmcnt(1)
	v_and_b32_e32 v1, v9, v11
	s_waitcnt vmcnt(0)
	v_mad_u64_u32 v[3:4], s[20:21], v1, 24, v[13:14]
	v_and_b32_e32 v9, v10, v12
	v_mov_b32_e32 v1, v4
	v_mad_u64_u32 v[9:10], s[20:21], v9, 24, v[1:2]
	v_mov_b32_e32 v4, v9
	global_load_dwordx2 v[9:10], v[3:4], off glc
	s_waitcnt vmcnt(0)
	global_atomic_cmpswap_x2 v[3:4], v2, v[9:12], s[2:3] offset:24 glc
	s_waitcnt vmcnt(0)
	buffer_wbinvl1_vol
	v_cmp_eq_u64_e32 vcc, v[3:4], v[11:12]
	s_or_b64 s[18:19], vcc, s[18:19]
	s_andn2_b64 exec, exec, s[18:19]
	s_cbranch_execnz .LBB3_847
; %bb.848:                              ;   in Loop: Header=BB3_5 Depth=1
	s_or_b64 exec, exec, s[18:19]
.LBB3_849:                              ;   in Loop: Header=BB3_5 Depth=1
	s_or_b64 exec, exec, s[16:17]
.LBB3_850:                              ;   in Loop: Header=BB3_5 Depth=1
	s_or_b64 exec, exec, s[14:15]
	global_load_dwordx2 v[9:10], v2, s[2:3] offset:40
	global_load_dwordx4 v[11:14], v2, s[2:3]
	v_readfirstlane_b32 s15, v4
	v_readfirstlane_b32 s14, v3
	s_mov_b64 s[16:17], exec
	s_waitcnt vmcnt(1)
	v_readfirstlane_b32 s18, v9
	v_readfirstlane_b32 s19, v10
	s_and_b64 s[18:19], s[18:19], s[14:15]
	s_mul_i32 s20, s19, 24
	s_mul_hi_u32 s21, s18, 24
	s_mul_i32 s22, s18, 24
	s_add_i32 s20, s21, s20
	v_mov_b32_e32 v1, s20
	s_waitcnt vmcnt(0)
	v_add_co_u32_e32 v15, vcc, s22, v11
	v_addc_co_u32_e32 v16, vcc, v12, v1, vcc
	s_and_saveexec_b64 s[20:21], s[0:1]
	s_cbranch_execz .LBB3_852
; %bb.851:                              ;   in Loop: Header=BB3_5 Depth=1
	v_mov_b32_e32 v3, s16
	v_mov_b32_e32 v4, s17
	global_store_dwordx4 v[15:16], v[3:6], off offset:8
.LBB3_852:                              ;   in Loop: Header=BB3_5 Depth=1
	s_or_b64 exec, exec, s[20:21]
	s_lshl_b64 s[16:17], s[18:19], 12
	v_mov_b32_e32 v1, s17
	v_add_co_u32_e32 v13, vcc, s16, v13
	v_addc_co_u32_e32 v14, vcc, v14, v1, vcc
	v_and_or_b32 v7, v7, s29, 32
	v_mov_b32_e32 v9, v2
	v_mov_b32_e32 v10, v2
	v_readfirstlane_b32 s16, v13
	v_readfirstlane_b32 s17, v14
	s_nop 4
	global_store_dwordx4 v38, v[7:10], s[16:17]
	s_nop 0
	v_mov_b32_e32 v7, s8
	v_mov_b32_e32 v8, s9
	;; [unrolled: 1-line block ×4, first 2 shown]
	global_store_dwordx4 v38, v[7:10], s[16:17] offset:16
	global_store_dwordx4 v38, v[7:10], s[16:17] offset:32
	;; [unrolled: 1-line block ×3, first 2 shown]
	s_and_saveexec_b64 s[16:17], s[0:1]
	s_cbranch_execz .LBB3_860
; %bb.853:                              ;   in Loop: Header=BB3_5 Depth=1
	global_load_dwordx2 v[19:20], v2, s[2:3] offset:32 glc
	global_load_dwordx2 v[3:4], v2, s[2:3] offset:40
	v_mov_b32_e32 v17, s14
	v_mov_b32_e32 v18, s15
	s_waitcnt vmcnt(0)
	v_readfirstlane_b32 s18, v3
	v_readfirstlane_b32 s19, v4
	s_and_b64 s[18:19], s[18:19], s[14:15]
	s_mul_i32 s19, s19, 24
	s_mul_hi_u32 s20, s18, 24
	s_mul_i32 s18, s18, 24
	s_add_i32 s19, s20, s19
	v_mov_b32_e32 v1, s19
	v_add_co_u32_e32 v3, vcc, s18, v11
	v_addc_co_u32_e32 v4, vcc, v12, v1, vcc
	global_store_dwordx2 v[3:4], v[19:20], off
	s_waitcnt vmcnt(0)
	global_atomic_cmpswap_x2 v[9:10], v2, v[17:20], s[2:3] offset:32 glc
	s_waitcnt vmcnt(0)
	v_cmp_ne_u64_e32 vcc, v[9:10], v[19:20]
	s_and_saveexec_b64 s[18:19], vcc
	s_cbranch_execz .LBB3_856
; %bb.854:                              ;   in Loop: Header=BB3_5 Depth=1
	s_mov_b64 s[20:21], 0
.LBB3_855:                              ;   Parent Loop BB3_5 Depth=1
                                        ; =>  This Inner Loop Header: Depth=2
	s_sleep 1
	global_store_dwordx2 v[3:4], v[9:10], off
	v_mov_b32_e32 v7, s14
	v_mov_b32_e32 v8, s15
	s_waitcnt vmcnt(0)
	global_atomic_cmpswap_x2 v[7:8], v2, v[7:10], s[2:3] offset:32 glc
	s_waitcnt vmcnt(0)
	v_cmp_eq_u64_e32 vcc, v[7:8], v[9:10]
	v_mov_b32_e32 v10, v8
	s_or_b64 s[20:21], vcc, s[20:21]
	v_mov_b32_e32 v9, v7
	s_andn2_b64 exec, exec, s[20:21]
	s_cbranch_execnz .LBB3_855
.LBB3_856:                              ;   in Loop: Header=BB3_5 Depth=1
	s_or_b64 exec, exec, s[18:19]
	global_load_dwordx2 v[3:4], v2, s[2:3] offset:16
	s_mov_b64 s[20:21], exec
	v_mbcnt_lo_u32_b32 v1, s20, 0
	v_mbcnt_hi_u32_b32 v1, s21, v1
	v_cmp_eq_u32_e32 vcc, 0, v1
	s_and_saveexec_b64 s[18:19], vcc
	s_cbranch_execz .LBB3_858
; %bb.857:                              ;   in Loop: Header=BB3_5 Depth=1
	s_bcnt1_i32_b64 s20, s[20:21]
	v_mov_b32_e32 v1, s20
	s_waitcnt vmcnt(0)
	global_atomic_add_x2 v[3:4], v[1:2], off offset:8
.LBB3_858:                              ;   in Loop: Header=BB3_5 Depth=1
	s_or_b64 exec, exec, s[18:19]
	s_waitcnt vmcnt(0)
	global_load_dwordx2 v[7:8], v[3:4], off offset:16
	s_waitcnt vmcnt(0)
	v_cmp_eq_u64_e32 vcc, 0, v[7:8]
	s_cbranch_vccnz .LBB3_860
; %bb.859:                              ;   in Loop: Header=BB3_5 Depth=1
	global_load_dword v1, v[3:4], off offset:24
	s_waitcnt vmcnt(0)
	v_readfirstlane_b32 s18, v1
	s_and_b32 m0, s18, 0xffffff
	global_store_dwordx2 v[7:8], v[1:2], off
	s_sendmsg sendmsg(MSG_INTERRUPT)
.LBB3_860:                              ;   in Loop: Header=BB3_5 Depth=1
	s_or_b64 exec, exec, s[16:17]
	v_add_co_u32_e32 v3, vcc, v13, v38
	v_addc_co_u32_e32 v4, vcc, 0, v14, vcc
	s_branch .LBB3_864
.LBB3_861:                              ;   in Loop: Header=BB3_864 Depth=2
	s_or_b64 exec, exec, s[16:17]
	v_readfirstlane_b32 s16, v1
	s_cmp_eq_u32 s16, 0
	s_cbranch_scc1 .LBB3_863
; %bb.862:                              ;   in Loop: Header=BB3_864 Depth=2
	s_sleep 1
	s_cbranch_execnz .LBB3_864
	s_branch .LBB3_866
.LBB3_863:                              ;   in Loop: Header=BB3_5 Depth=1
	s_branch .LBB3_866
.LBB3_864:                              ;   Parent Loop BB3_5 Depth=1
                                        ; =>  This Inner Loop Header: Depth=2
	v_mov_b32_e32 v1, 1
	s_and_saveexec_b64 s[16:17], s[0:1]
	s_cbranch_execz .LBB3_861
; %bb.865:                              ;   in Loop: Header=BB3_864 Depth=2
	global_load_dword v1, v[15:16], off offset:20 glc
	s_waitcnt vmcnt(0)
	buffer_wbinvl1_vol
	v_and_b32_e32 v1, 1, v1
	s_branch .LBB3_861
.LBB3_866:                              ;   in Loop: Header=BB3_5 Depth=1
	global_load_dwordx2 v[9:10], v[3:4], off
	s_and_saveexec_b64 s[16:17], s[0:1]
	s_cbranch_execz .LBB3_870
; %bb.867:                              ;   in Loop: Header=BB3_5 Depth=1
	global_load_dwordx2 v[3:4], v2, s[2:3] offset:40
	global_load_dwordx2 v[15:16], v2, s[2:3] offset:24 glc
	global_load_dwordx2 v[7:8], v2, s[2:3]
	s_waitcnt vmcnt(2)
	v_readfirstlane_b32 s18, v3
	v_readfirstlane_b32 s19, v4
	s_add_u32 s20, s18, 1
	s_addc_u32 s21, s19, 0
	s_add_u32 s0, s20, s14
	s_addc_u32 s1, s21, s15
	s_cmp_eq_u64 s[0:1], 0
	s_cselect_b32 s1, s21, s1
	s_cselect_b32 s0, s20, s0
	s_and_b64 s[14:15], s[0:1], s[18:19]
	s_mul_i32 s15, s15, 24
	s_mul_hi_u32 s18, s14, 24
	s_mul_i32 s14, s14, 24
	s_add_i32 s15, s18, s15
	v_mov_b32_e32 v1, s15
	s_waitcnt vmcnt(0)
	v_add_co_u32_e32 v3, vcc, s14, v7
	v_addc_co_u32_e32 v4, vcc, v8, v1, vcc
	v_mov_b32_e32 v13, s0
	global_store_dwordx2 v[3:4], v[15:16], off
	v_mov_b32_e32 v14, s1
	s_waitcnt vmcnt(0)
	global_atomic_cmpswap_x2 v[13:14], v2, v[13:16], s[2:3] offset:24 glc
	s_waitcnt vmcnt(0)
	v_cmp_ne_u64_e32 vcc, v[13:14], v[15:16]
	s_and_b64 exec, exec, vcc
	s_cbranch_execz .LBB3_870
; %bb.868:                              ;   in Loop: Header=BB3_5 Depth=1
	s_mov_b64 s[14:15], 0
.LBB3_869:                              ;   Parent Loop BB3_5 Depth=1
                                        ; =>  This Inner Loop Header: Depth=2
	s_sleep 1
	global_store_dwordx2 v[3:4], v[13:14], off
	v_mov_b32_e32 v11, s0
	v_mov_b32_e32 v12, s1
	s_waitcnt vmcnt(0)
	global_atomic_cmpswap_x2 v[7:8], v2, v[11:14], s[2:3] offset:24 glc
	s_waitcnt vmcnt(0)
	v_cmp_eq_u64_e32 vcc, v[7:8], v[13:14]
	v_mov_b32_e32 v14, v8
	s_or_b64 s[14:15], vcc, s[14:15]
	v_mov_b32_e32 v13, v7
	s_andn2_b64 exec, exec, s[14:15]
	s_cbranch_execnz .LBB3_869
.LBB3_870:                              ;   in Loop: Header=BB3_5 Depth=1
	s_or_b64 exec, exec, s[16:17]
.LBB3_871:                              ;   in Loop: Header=BB3_5 Depth=1
	v_readfirstlane_b32 s0, v36
	v_mov_b32_e32 v3, 0
	v_mov_b32_e32 v4, 0
	v_cmp_eq_u32_e64 s[0:1], s0, v36
	s_and_saveexec_b64 s[14:15], s[0:1]
	s_cbranch_execz .LBB3_877
; %bb.872:                              ;   in Loop: Header=BB3_5 Depth=1
	global_load_dwordx2 v[13:14], v2, s[2:3] offset:24 glc
	s_waitcnt vmcnt(0)
	buffer_wbinvl1_vol
	global_load_dwordx2 v[3:4], v2, s[2:3] offset:40
	global_load_dwordx2 v[7:8], v2, s[2:3]
	s_waitcnt vmcnt(1)
	v_and_b32_e32 v1, v3, v13
	v_and_b32_e32 v3, v4, v14
	v_mul_lo_u32 v3, v3, 24
	v_mul_hi_u32 v4, v1, 24
	v_mul_lo_u32 v1, v1, 24
	v_add_u32_e32 v4, v4, v3
	s_waitcnt vmcnt(0)
	v_add_co_u32_e32 v3, vcc, v7, v1
	v_addc_co_u32_e32 v4, vcc, v8, v4, vcc
	global_load_dwordx2 v[11:12], v[3:4], off glc
	s_waitcnt vmcnt(0)
	global_atomic_cmpswap_x2 v[3:4], v2, v[11:14], s[2:3] offset:24 glc
	s_waitcnt vmcnt(0)
	buffer_wbinvl1_vol
	v_cmp_ne_u64_e32 vcc, v[3:4], v[13:14]
	s_and_saveexec_b64 s[16:17], vcc
	s_cbranch_execz .LBB3_876
; %bb.873:                              ;   in Loop: Header=BB3_5 Depth=1
	s_mov_b64 s[18:19], 0
.LBB3_874:                              ;   Parent Loop BB3_5 Depth=1
                                        ; =>  This Inner Loop Header: Depth=2
	s_sleep 1
	global_load_dwordx2 v[7:8], v2, s[2:3] offset:40
	global_load_dwordx2 v[11:12], v2, s[2:3]
	v_mov_b32_e32 v14, v4
	v_mov_b32_e32 v13, v3
	s_waitcnt vmcnt(1)
	v_and_b32_e32 v1, v7, v13
	s_waitcnt vmcnt(0)
	v_mad_u64_u32 v[3:4], s[20:21], v1, 24, v[11:12]
	v_and_b32_e32 v7, v8, v14
	v_mov_b32_e32 v1, v4
	v_mad_u64_u32 v[7:8], s[20:21], v7, 24, v[1:2]
	v_mov_b32_e32 v4, v7
	global_load_dwordx2 v[11:12], v[3:4], off glc
	s_waitcnt vmcnt(0)
	global_atomic_cmpswap_x2 v[3:4], v2, v[11:14], s[2:3] offset:24 glc
	s_waitcnt vmcnt(0)
	buffer_wbinvl1_vol
	v_cmp_eq_u64_e32 vcc, v[3:4], v[13:14]
	s_or_b64 s[18:19], vcc, s[18:19]
	s_andn2_b64 exec, exec, s[18:19]
	s_cbranch_execnz .LBB3_874
; %bb.875:                              ;   in Loop: Header=BB3_5 Depth=1
	s_or_b64 exec, exec, s[18:19]
.LBB3_876:                              ;   in Loop: Header=BB3_5 Depth=1
	s_or_b64 exec, exec, s[16:17]
.LBB3_877:                              ;   in Loop: Header=BB3_5 Depth=1
	s_or_b64 exec, exec, s[14:15]
	global_load_dwordx2 v[7:8], v2, s[2:3] offset:40
	global_load_dwordx4 v[13:16], v2, s[2:3]
	v_readfirstlane_b32 s15, v4
	v_readfirstlane_b32 s14, v3
	s_mov_b64 s[16:17], exec
	s_waitcnt vmcnt(1)
	v_readfirstlane_b32 s18, v7
	v_readfirstlane_b32 s19, v8
	s_and_b64 s[18:19], s[18:19], s[14:15]
	s_mul_i32 s20, s19, 24
	s_mul_hi_u32 s21, s18, 24
	s_mul_i32 s22, s18, 24
	s_add_i32 s20, s21, s20
	v_mov_b32_e32 v1, s20
	s_waitcnt vmcnt(0)
	v_add_co_u32_e32 v17, vcc, s22, v13
	v_addc_co_u32_e32 v18, vcc, v14, v1, vcc
	s_and_saveexec_b64 s[20:21], s[0:1]
	s_cbranch_execz .LBB3_879
; %bb.878:                              ;   in Loop: Header=BB3_5 Depth=1
	v_mov_b32_e32 v3, s16
	v_mov_b32_e32 v4, s17
	global_store_dwordx4 v[17:18], v[3:6], off offset:8
.LBB3_879:                              ;   in Loop: Header=BB3_5 Depth=1
	s_or_b64 exec, exec, s[20:21]
	s_lshl_b64 s[16:17], s[18:19], 12
	v_mov_b32_e32 v1, s17
	v_add_co_u32_e32 v15, vcc, s16, v15
	v_addc_co_u32_e32 v16, vcc, v16, v1, vcc
	v_and_or_b32 v9, v9, s29, 32
	v_mov_b32_e32 v11, v29
	v_mov_b32_e32 v12, v30
	v_readfirstlane_b32 s16, v15
	v_readfirstlane_b32 s17, v16
	s_nop 4
	global_store_dwordx4 v38, v[9:12], s[16:17]
	v_mov_b32_e32 v7, s8
	v_mov_b32_e32 v8, s9
	;; [unrolled: 1-line block ×4, first 2 shown]
	global_store_dwordx4 v38, v[7:10], s[16:17] offset:16
	global_store_dwordx4 v38, v[7:10], s[16:17] offset:32
	;; [unrolled: 1-line block ×3, first 2 shown]
	s_and_saveexec_b64 s[16:17], s[0:1]
	s_cbranch_execz .LBB3_887
; %bb.880:                              ;   in Loop: Header=BB3_5 Depth=1
	global_load_dwordx2 v[11:12], v2, s[2:3] offset:32 glc
	global_load_dwordx2 v[3:4], v2, s[2:3] offset:40
	v_mov_b32_e32 v9, s14
	v_mov_b32_e32 v10, s15
	s_waitcnt vmcnt(0)
	v_readfirstlane_b32 s18, v3
	v_readfirstlane_b32 s19, v4
	s_and_b64 s[18:19], s[18:19], s[14:15]
	s_mul_i32 s19, s19, 24
	s_mul_hi_u32 s20, s18, 24
	s_mul_i32 s18, s18, 24
	s_add_i32 s19, s20, s19
	v_mov_b32_e32 v1, s19
	v_add_co_u32_e32 v3, vcc, s18, v13
	v_addc_co_u32_e32 v4, vcc, v14, v1, vcc
	global_store_dwordx2 v[3:4], v[11:12], off
	s_waitcnt vmcnt(0)
	global_atomic_cmpswap_x2 v[9:10], v2, v[9:12], s[2:3] offset:32 glc
	s_waitcnt vmcnt(0)
	v_cmp_ne_u64_e32 vcc, v[9:10], v[11:12]
	s_and_saveexec_b64 s[18:19], vcc
	s_cbranch_execz .LBB3_883
; %bb.881:                              ;   in Loop: Header=BB3_5 Depth=1
	s_mov_b64 s[20:21], 0
.LBB3_882:                              ;   Parent Loop BB3_5 Depth=1
                                        ; =>  This Inner Loop Header: Depth=2
	s_sleep 1
	global_store_dwordx2 v[3:4], v[9:10], off
	v_mov_b32_e32 v7, s14
	v_mov_b32_e32 v8, s15
	s_waitcnt vmcnt(0)
	global_atomic_cmpswap_x2 v[7:8], v2, v[7:10], s[2:3] offset:32 glc
	s_waitcnt vmcnt(0)
	v_cmp_eq_u64_e32 vcc, v[7:8], v[9:10]
	v_mov_b32_e32 v10, v8
	s_or_b64 s[20:21], vcc, s[20:21]
	v_mov_b32_e32 v9, v7
	s_andn2_b64 exec, exec, s[20:21]
	s_cbranch_execnz .LBB3_882
.LBB3_883:                              ;   in Loop: Header=BB3_5 Depth=1
	s_or_b64 exec, exec, s[18:19]
	global_load_dwordx2 v[3:4], v2, s[2:3] offset:16
	s_mov_b64 s[20:21], exec
	v_mbcnt_lo_u32_b32 v1, s20, 0
	v_mbcnt_hi_u32_b32 v1, s21, v1
	v_cmp_eq_u32_e32 vcc, 0, v1
	s_and_saveexec_b64 s[18:19], vcc
	s_cbranch_execz .LBB3_885
; %bb.884:                              ;   in Loop: Header=BB3_5 Depth=1
	s_bcnt1_i32_b64 s20, s[20:21]
	v_mov_b32_e32 v1, s20
	s_waitcnt vmcnt(0)
	global_atomic_add_x2 v[3:4], v[1:2], off offset:8
.LBB3_885:                              ;   in Loop: Header=BB3_5 Depth=1
	s_or_b64 exec, exec, s[18:19]
	s_waitcnt vmcnt(0)
	global_load_dwordx2 v[7:8], v[3:4], off offset:16
	s_waitcnt vmcnt(0)
	v_cmp_eq_u64_e32 vcc, 0, v[7:8]
	s_cbranch_vccnz .LBB3_887
; %bb.886:                              ;   in Loop: Header=BB3_5 Depth=1
	global_load_dword v1, v[3:4], off offset:24
	s_waitcnt vmcnt(0)
	v_readfirstlane_b32 s18, v1
	s_and_b32 m0, s18, 0xffffff
	global_store_dwordx2 v[7:8], v[1:2], off
	s_sendmsg sendmsg(MSG_INTERRUPT)
.LBB3_887:                              ;   in Loop: Header=BB3_5 Depth=1
	s_or_b64 exec, exec, s[16:17]
	v_add_co_u32_e32 v3, vcc, v15, v38
	v_addc_co_u32_e32 v4, vcc, 0, v16, vcc
	s_branch .LBB3_891
.LBB3_888:                              ;   in Loop: Header=BB3_891 Depth=2
	s_or_b64 exec, exec, s[16:17]
	v_readfirstlane_b32 s16, v1
	s_cmp_eq_u32 s16, 0
	s_cbranch_scc1 .LBB3_890
; %bb.889:                              ;   in Loop: Header=BB3_891 Depth=2
	s_sleep 1
	s_cbranch_execnz .LBB3_891
	s_branch .LBB3_893
.LBB3_890:                              ;   in Loop: Header=BB3_5 Depth=1
	s_branch .LBB3_893
.LBB3_891:                              ;   Parent Loop BB3_5 Depth=1
                                        ; =>  This Inner Loop Header: Depth=2
	v_mov_b32_e32 v1, 1
	s_and_saveexec_b64 s[16:17], s[0:1]
	s_cbranch_execz .LBB3_888
; %bb.892:                              ;   in Loop: Header=BB3_891 Depth=2
	global_load_dword v1, v[17:18], off offset:20 glc
	s_waitcnt vmcnt(0)
	buffer_wbinvl1_vol
	v_and_b32_e32 v1, 1, v1
	s_branch .LBB3_888
.LBB3_893:                              ;   in Loop: Header=BB3_5 Depth=1
	global_load_dwordx2 v[7:8], v[3:4], off
	s_and_saveexec_b64 s[16:17], s[0:1]
	s_cbranch_execz .LBB3_897
; %bb.894:                              ;   in Loop: Header=BB3_5 Depth=1
	global_load_dwordx2 v[3:4], v2, s[2:3] offset:40
	global_load_dwordx2 v[13:14], v2, s[2:3] offset:24 glc
	global_load_dwordx2 v[9:10], v2, s[2:3]
	s_waitcnt vmcnt(2)
	v_readfirstlane_b32 s18, v3
	v_readfirstlane_b32 s19, v4
	s_add_u32 s20, s18, 1
	s_addc_u32 s21, s19, 0
	s_add_u32 s0, s20, s14
	s_addc_u32 s1, s21, s15
	s_cmp_eq_u64 s[0:1], 0
	s_cselect_b32 s1, s21, s1
	s_cselect_b32 s0, s20, s0
	s_and_b64 s[14:15], s[0:1], s[18:19]
	s_mul_i32 s15, s15, 24
	s_mul_hi_u32 s18, s14, 24
	s_mul_i32 s14, s14, 24
	s_add_i32 s15, s18, s15
	v_mov_b32_e32 v1, s15
	s_waitcnt vmcnt(0)
	v_add_co_u32_e32 v3, vcc, s14, v9
	v_addc_co_u32_e32 v4, vcc, v10, v1, vcc
	v_mov_b32_e32 v11, s0
	global_store_dwordx2 v[3:4], v[13:14], off
	v_mov_b32_e32 v12, s1
	s_waitcnt vmcnt(0)
	global_atomic_cmpswap_x2 v[11:12], v2, v[11:14], s[2:3] offset:24 glc
	s_waitcnt vmcnt(0)
	v_cmp_ne_u64_e32 vcc, v[11:12], v[13:14]
	s_and_b64 exec, exec, vcc
	s_cbranch_execz .LBB3_897
; %bb.895:                              ;   in Loop: Header=BB3_5 Depth=1
	s_mov_b64 s[14:15], 0
.LBB3_896:                              ;   Parent Loop BB3_5 Depth=1
                                        ; =>  This Inner Loop Header: Depth=2
	s_sleep 1
	global_store_dwordx2 v[3:4], v[11:12], off
	v_mov_b32_e32 v9, s0
	v_mov_b32_e32 v10, s1
	s_waitcnt vmcnt(0)
	global_atomic_cmpswap_x2 v[9:10], v2, v[9:12], s[2:3] offset:24 glc
	s_waitcnt vmcnt(0)
	v_cmp_eq_u64_e32 vcc, v[9:10], v[11:12]
	v_mov_b32_e32 v12, v10
	s_or_b64 s[14:15], vcc, s[14:15]
	v_mov_b32_e32 v11, v9
	s_andn2_b64 exec, exec, s[14:15]
	s_cbranch_execnz .LBB3_896
.LBB3_897:                              ;   in Loop: Header=BB3_5 Depth=1
	s_or_b64 exec, exec, s[16:17]
	v_readfirstlane_b32 s0, v36
	v_mov_b32_e32 v3, 0
	v_mov_b32_e32 v4, 0
	v_cmp_eq_u32_e64 s[0:1], s0, v36
	s_and_saveexec_b64 s[14:15], s[0:1]
	s_cbranch_execz .LBB3_903
; %bb.898:                              ;   in Loop: Header=BB3_5 Depth=1
	global_load_dwordx2 v[11:12], v2, s[2:3] offset:24 glc
	s_waitcnt vmcnt(0)
	buffer_wbinvl1_vol
	global_load_dwordx2 v[3:4], v2, s[2:3] offset:40
	global_load_dwordx2 v[9:10], v2, s[2:3]
	s_waitcnt vmcnt(1)
	v_and_b32_e32 v1, v3, v11
	v_and_b32_e32 v3, v4, v12
	v_mul_lo_u32 v3, v3, 24
	v_mul_hi_u32 v4, v1, 24
	v_mul_lo_u32 v1, v1, 24
	v_add_u32_e32 v4, v4, v3
	s_waitcnt vmcnt(0)
	v_add_co_u32_e32 v3, vcc, v9, v1
	v_addc_co_u32_e32 v4, vcc, v10, v4, vcc
	global_load_dwordx2 v[9:10], v[3:4], off glc
	s_waitcnt vmcnt(0)
	global_atomic_cmpswap_x2 v[3:4], v2, v[9:12], s[2:3] offset:24 glc
	s_waitcnt vmcnt(0)
	buffer_wbinvl1_vol
	v_cmp_ne_u64_e32 vcc, v[3:4], v[11:12]
	s_and_saveexec_b64 s[16:17], vcc
	s_cbranch_execz .LBB3_902
; %bb.899:                              ;   in Loop: Header=BB3_5 Depth=1
	s_mov_b64 s[18:19], 0
.LBB3_900:                              ;   Parent Loop BB3_5 Depth=1
                                        ; =>  This Inner Loop Header: Depth=2
	s_sleep 1
	global_load_dwordx2 v[9:10], v2, s[2:3] offset:40
	global_load_dwordx2 v[13:14], v2, s[2:3]
	v_mov_b32_e32 v12, v4
	v_mov_b32_e32 v11, v3
	s_waitcnt vmcnt(1)
	v_and_b32_e32 v1, v9, v11
	s_waitcnt vmcnt(0)
	v_mad_u64_u32 v[3:4], s[20:21], v1, 24, v[13:14]
	v_and_b32_e32 v9, v10, v12
	v_mov_b32_e32 v1, v4
	v_mad_u64_u32 v[9:10], s[20:21], v9, 24, v[1:2]
	v_mov_b32_e32 v4, v9
	global_load_dwordx2 v[9:10], v[3:4], off glc
	s_waitcnt vmcnt(0)
	global_atomic_cmpswap_x2 v[3:4], v2, v[9:12], s[2:3] offset:24 glc
	s_waitcnt vmcnt(0)
	buffer_wbinvl1_vol
	v_cmp_eq_u64_e32 vcc, v[3:4], v[11:12]
	s_or_b64 s[18:19], vcc, s[18:19]
	s_andn2_b64 exec, exec, s[18:19]
	s_cbranch_execnz .LBB3_900
; %bb.901:                              ;   in Loop: Header=BB3_5 Depth=1
	s_or_b64 exec, exec, s[18:19]
.LBB3_902:                              ;   in Loop: Header=BB3_5 Depth=1
	s_or_b64 exec, exec, s[16:17]
.LBB3_903:                              ;   in Loop: Header=BB3_5 Depth=1
	s_or_b64 exec, exec, s[14:15]
	global_load_dwordx2 v[9:10], v2, s[2:3] offset:40
	global_load_dwordx4 v[11:14], v2, s[2:3]
	v_readfirstlane_b32 s15, v4
	v_readfirstlane_b32 s14, v3
	s_mov_b64 s[16:17], exec
	s_waitcnt vmcnt(1)
	v_readfirstlane_b32 s18, v9
	v_readfirstlane_b32 s19, v10
	s_and_b64 s[18:19], s[18:19], s[14:15]
	s_mul_i32 s20, s19, 24
	s_mul_hi_u32 s21, s18, 24
	s_mul_i32 s22, s18, 24
	s_add_i32 s20, s21, s20
	v_mov_b32_e32 v1, s20
	s_waitcnt vmcnt(0)
	v_add_co_u32_e32 v15, vcc, s22, v11
	v_addc_co_u32_e32 v16, vcc, v12, v1, vcc
	s_and_saveexec_b64 s[20:21], s[0:1]
	s_cbranch_execz .LBB3_905
; %bb.904:                              ;   in Loop: Header=BB3_5 Depth=1
	v_mov_b32_e32 v3, s16
	v_mov_b32_e32 v4, s17
	global_store_dwordx4 v[15:16], v[3:6], off offset:8
.LBB3_905:                              ;   in Loop: Header=BB3_5 Depth=1
	s_or_b64 exec, exec, s[20:21]
	s_lshl_b64 s[16:17], s[18:19], 12
	v_mov_b32_e32 v1, s17
	v_add_co_u32_e32 v13, vcc, s16, v13
	v_addc_co_u32_e32 v14, vcc, v14, v1, vcc
	s_mul_i32 s16, s31, 0x64
	v_and_or_b32 v7, v7, s30, 34
	v_mov_b32_e32 v9, s16
	v_mov_b32_e32 v10, v2
	v_readfirstlane_b32 s16, v13
	v_readfirstlane_b32 s17, v14
	s_nop 4
	global_store_dwordx4 v38, v[7:10], s[16:17]
	s_nop 0
	v_mov_b32_e32 v7, s8
	v_mov_b32_e32 v8, s9
	;; [unrolled: 1-line block ×4, first 2 shown]
	global_store_dwordx4 v38, v[7:10], s[16:17] offset:16
	global_store_dwordx4 v38, v[7:10], s[16:17] offset:32
	;; [unrolled: 1-line block ×3, first 2 shown]
	s_and_saveexec_b64 s[16:17], s[0:1]
	s_cbranch_execz .LBB3_913
; %bb.906:                              ;   in Loop: Header=BB3_5 Depth=1
	global_load_dwordx2 v[19:20], v2, s[2:3] offset:32 glc
	global_load_dwordx2 v[3:4], v2, s[2:3] offset:40
	v_mov_b32_e32 v17, s14
	v_mov_b32_e32 v18, s15
	s_waitcnt vmcnt(0)
	v_readfirstlane_b32 s18, v3
	v_readfirstlane_b32 s19, v4
	s_and_b64 s[18:19], s[18:19], s[14:15]
	s_mul_i32 s19, s19, 24
	s_mul_hi_u32 s20, s18, 24
	s_mul_i32 s18, s18, 24
	s_add_i32 s19, s20, s19
	v_mov_b32_e32 v1, s19
	v_add_co_u32_e32 v3, vcc, s18, v11
	v_addc_co_u32_e32 v4, vcc, v12, v1, vcc
	global_store_dwordx2 v[3:4], v[19:20], off
	s_waitcnt vmcnt(0)
	global_atomic_cmpswap_x2 v[9:10], v2, v[17:20], s[2:3] offset:32 glc
	s_waitcnt vmcnt(0)
	v_cmp_ne_u64_e32 vcc, v[9:10], v[19:20]
	s_and_saveexec_b64 s[18:19], vcc
	s_cbranch_execz .LBB3_909
; %bb.907:                              ;   in Loop: Header=BB3_5 Depth=1
	s_mov_b64 s[20:21], 0
.LBB3_908:                              ;   Parent Loop BB3_5 Depth=1
                                        ; =>  This Inner Loop Header: Depth=2
	s_sleep 1
	global_store_dwordx2 v[3:4], v[9:10], off
	v_mov_b32_e32 v7, s14
	v_mov_b32_e32 v8, s15
	s_waitcnt vmcnt(0)
	global_atomic_cmpswap_x2 v[7:8], v2, v[7:10], s[2:3] offset:32 glc
	s_waitcnt vmcnt(0)
	v_cmp_eq_u64_e32 vcc, v[7:8], v[9:10]
	v_mov_b32_e32 v10, v8
	s_or_b64 s[20:21], vcc, s[20:21]
	v_mov_b32_e32 v9, v7
	s_andn2_b64 exec, exec, s[20:21]
	s_cbranch_execnz .LBB3_908
.LBB3_909:                              ;   in Loop: Header=BB3_5 Depth=1
	s_or_b64 exec, exec, s[18:19]
	global_load_dwordx2 v[3:4], v2, s[2:3] offset:16
	s_mov_b64 s[20:21], exec
	v_mbcnt_lo_u32_b32 v1, s20, 0
	v_mbcnt_hi_u32_b32 v1, s21, v1
	v_cmp_eq_u32_e32 vcc, 0, v1
	s_and_saveexec_b64 s[18:19], vcc
	s_cbranch_execz .LBB3_911
; %bb.910:                              ;   in Loop: Header=BB3_5 Depth=1
	s_bcnt1_i32_b64 s20, s[20:21]
	v_mov_b32_e32 v1, s20
	s_waitcnt vmcnt(0)
	global_atomic_add_x2 v[3:4], v[1:2], off offset:8
.LBB3_911:                              ;   in Loop: Header=BB3_5 Depth=1
	s_or_b64 exec, exec, s[18:19]
	s_waitcnt vmcnt(0)
	global_load_dwordx2 v[7:8], v[3:4], off offset:16
	s_waitcnt vmcnt(0)
	v_cmp_eq_u64_e32 vcc, 0, v[7:8]
	s_cbranch_vccnz .LBB3_913
; %bb.912:                              ;   in Loop: Header=BB3_5 Depth=1
	global_load_dword v1, v[3:4], off offset:24
	s_waitcnt vmcnt(0)
	v_readfirstlane_b32 s18, v1
	s_and_b32 m0, s18, 0xffffff
	global_store_dwordx2 v[7:8], v[1:2], off
	s_sendmsg sendmsg(MSG_INTERRUPT)
.LBB3_913:                              ;   in Loop: Header=BB3_5 Depth=1
	s_or_b64 exec, exec, s[16:17]
	v_add_co_u32_e32 v3, vcc, v13, v38
	v_addc_co_u32_e32 v4, vcc, 0, v14, vcc
	s_branch .LBB3_917
.LBB3_914:                              ;   in Loop: Header=BB3_917 Depth=2
	s_or_b64 exec, exec, s[16:17]
	v_readfirstlane_b32 s16, v1
	s_cmp_eq_u32 s16, 0
	s_cbranch_scc1 .LBB3_916
; %bb.915:                              ;   in Loop: Header=BB3_917 Depth=2
	s_sleep 1
	s_cbranch_execnz .LBB3_917
	s_branch .LBB3_919
.LBB3_916:                              ;   in Loop: Header=BB3_5 Depth=1
	s_branch .LBB3_919
.LBB3_917:                              ;   Parent Loop BB3_5 Depth=1
                                        ; =>  This Inner Loop Header: Depth=2
	v_mov_b32_e32 v1, 1
	s_and_saveexec_b64 s[16:17], s[0:1]
	s_cbranch_execz .LBB3_914
; %bb.918:                              ;   in Loop: Header=BB3_917 Depth=2
	global_load_dword v1, v[15:16], off offset:20 glc
	s_waitcnt vmcnt(0)
	buffer_wbinvl1_vol
	v_and_b32_e32 v1, 1, v1
	s_branch .LBB3_914
.LBB3_919:                              ;   in Loop: Header=BB3_5 Depth=1
	global_load_dwordx2 v[33:34], v[3:4], off
	s_and_saveexec_b64 s[16:17], s[0:1]
	s_cbranch_execz .LBB3_923
; %bb.920:                              ;   in Loop: Header=BB3_5 Depth=1
	global_load_dwordx2 v[3:4], v2, s[2:3] offset:40
	global_load_dwordx2 v[11:12], v2, s[2:3] offset:24 glc
	global_load_dwordx2 v[7:8], v2, s[2:3]
	s_waitcnt vmcnt(2)
	v_readfirstlane_b32 s18, v3
	v_readfirstlane_b32 s19, v4
	s_add_u32 s20, s18, 1
	s_addc_u32 s21, s19, 0
	s_add_u32 s0, s20, s14
	s_addc_u32 s1, s21, s15
	s_cmp_eq_u64 s[0:1], 0
	s_cselect_b32 s1, s21, s1
	s_cselect_b32 s0, s20, s0
	s_and_b64 s[14:15], s[0:1], s[18:19]
	s_mul_i32 s15, s15, 24
	s_mul_hi_u32 s18, s14, 24
	s_mul_i32 s14, s14, 24
	s_add_i32 s15, s18, s15
	v_mov_b32_e32 v1, s15
	s_waitcnt vmcnt(0)
	v_add_co_u32_e32 v3, vcc, s14, v7
	v_addc_co_u32_e32 v4, vcc, v8, v1, vcc
	v_mov_b32_e32 v9, s0
	global_store_dwordx2 v[3:4], v[11:12], off
	v_mov_b32_e32 v10, s1
	s_waitcnt vmcnt(0)
	global_atomic_cmpswap_x2 v[9:10], v2, v[9:12], s[2:3] offset:24 glc
	s_waitcnt vmcnt(0)
	v_cmp_ne_u64_e32 vcc, v[9:10], v[11:12]
	s_and_b64 exec, exec, vcc
	s_cbranch_execz .LBB3_923
; %bb.921:                              ;   in Loop: Header=BB3_5 Depth=1
	s_mov_b64 s[14:15], 0
.LBB3_922:                              ;   Parent Loop BB3_5 Depth=1
                                        ; =>  This Inner Loop Header: Depth=2
	s_sleep 1
	global_store_dwordx2 v[3:4], v[9:10], off
	v_mov_b32_e32 v7, s0
	v_mov_b32_e32 v8, s1
	s_waitcnt vmcnt(0)
	global_atomic_cmpswap_x2 v[7:8], v2, v[7:10], s[2:3] offset:24 glc
	s_waitcnt vmcnt(0)
	v_cmp_eq_u64_e32 vcc, v[7:8], v[9:10]
	v_mov_b32_e32 v10, v8
	s_or_b64 s[14:15], vcc, s[14:15]
	v_mov_b32_e32 v9, v7
	s_andn2_b64 exec, exec, s[14:15]
	s_cbranch_execnz .LBB3_922
.LBB3_923:                              ;   in Loop: Header=BB3_5 Depth=1
	s_or_b64 exec, exec, s[16:17]
	v_readfirstlane_b32 s0, v36
	v_mov_b32_e32 v3, 0
	v_mov_b32_e32 v4, 0
	v_cmp_eq_u32_e64 s[0:1], s0, v36
	s_and_saveexec_b64 s[14:15], s[0:1]
	s_cbranch_execz .LBB3_929
; %bb.924:                              ;   in Loop: Header=BB3_5 Depth=1
	global_load_dwordx2 v[9:10], v2, s[2:3] offset:24 glc
	s_waitcnt vmcnt(0)
	buffer_wbinvl1_vol
	global_load_dwordx2 v[3:4], v2, s[2:3] offset:40
	global_load_dwordx2 v[7:8], v2, s[2:3]
	s_waitcnt vmcnt(1)
	v_and_b32_e32 v1, v3, v9
	v_and_b32_e32 v3, v4, v10
	v_mul_lo_u32 v3, v3, 24
	v_mul_hi_u32 v4, v1, 24
	v_mul_lo_u32 v1, v1, 24
	v_add_u32_e32 v4, v4, v3
	s_waitcnt vmcnt(0)
	v_add_co_u32_e32 v3, vcc, v7, v1
	v_addc_co_u32_e32 v4, vcc, v8, v4, vcc
	global_load_dwordx2 v[7:8], v[3:4], off glc
	s_waitcnt vmcnt(0)
	global_atomic_cmpswap_x2 v[3:4], v2, v[7:10], s[2:3] offset:24 glc
	s_waitcnt vmcnt(0)
	buffer_wbinvl1_vol
	v_cmp_ne_u64_e32 vcc, v[3:4], v[9:10]
	s_and_saveexec_b64 s[16:17], vcc
	s_cbranch_execz .LBB3_928
; %bb.925:                              ;   in Loop: Header=BB3_5 Depth=1
	s_mov_b64 s[18:19], 0
.LBB3_926:                              ;   Parent Loop BB3_5 Depth=1
                                        ; =>  This Inner Loop Header: Depth=2
	s_sleep 1
	global_load_dwordx2 v[7:8], v2, s[2:3] offset:40
	global_load_dwordx2 v[11:12], v2, s[2:3]
	v_mov_b32_e32 v10, v4
	v_mov_b32_e32 v9, v3
	s_waitcnt vmcnt(1)
	v_and_b32_e32 v1, v7, v9
	s_waitcnt vmcnt(0)
	v_mad_u64_u32 v[3:4], s[20:21], v1, 24, v[11:12]
	v_and_b32_e32 v7, v8, v10
	v_mov_b32_e32 v1, v4
	v_mad_u64_u32 v[7:8], s[20:21], v7, 24, v[1:2]
	v_mov_b32_e32 v4, v7
	global_load_dwordx2 v[7:8], v[3:4], off glc
	s_waitcnt vmcnt(0)
	global_atomic_cmpswap_x2 v[3:4], v2, v[7:10], s[2:3] offset:24 glc
	s_waitcnt vmcnt(0)
	buffer_wbinvl1_vol
	v_cmp_eq_u64_e32 vcc, v[3:4], v[9:10]
	s_or_b64 s[18:19], vcc, s[18:19]
	s_andn2_b64 exec, exec, s[18:19]
	s_cbranch_execnz .LBB3_926
; %bb.927:                              ;   in Loop: Header=BB3_5 Depth=1
	s_or_b64 exec, exec, s[18:19]
.LBB3_928:                              ;   in Loop: Header=BB3_5 Depth=1
	s_or_b64 exec, exec, s[16:17]
.LBB3_929:                              ;   in Loop: Header=BB3_5 Depth=1
	s_or_b64 exec, exec, s[14:15]
	global_load_dwordx2 v[11:12], v2, s[2:3] offset:40
	global_load_dwordx4 v[7:10], v2, s[2:3]
	v_readfirstlane_b32 s15, v4
	v_readfirstlane_b32 s14, v3
	s_mov_b64 s[16:17], exec
	s_waitcnt vmcnt(1)
	v_readfirstlane_b32 s18, v11
	v_readfirstlane_b32 s19, v12
	s_and_b64 s[18:19], s[18:19], s[14:15]
	s_mul_i32 s20, s19, 24
	s_mul_hi_u32 s21, s18, 24
	s_mul_i32 s22, s18, 24
	s_add_i32 s20, s21, s20
	v_mov_b32_e32 v1, s20
	s_waitcnt vmcnt(0)
	v_add_co_u32_e32 v11, vcc, s22, v7
	v_addc_co_u32_e32 v12, vcc, v8, v1, vcc
	s_and_saveexec_b64 s[20:21], s[0:1]
	s_cbranch_execz .LBB3_931
; %bb.930:                              ;   in Loop: Header=BB3_5 Depth=1
	v_mov_b32_e32 v3, s16
	v_mov_b32_e32 v4, s17
	global_store_dwordx4 v[11:12], v[3:6], off offset:8
.LBB3_931:                              ;   in Loop: Header=BB3_5 Depth=1
	s_or_b64 exec, exec, s[20:21]
	s_lshl_b64 s[16:17], s[18:19], 12
	v_mov_b32_e32 v1, s17
	v_add_co_u32_e32 v13, vcc, s16, v9
	v_addc_co_u32_e32 v14, vcc, v10, v1, vcc
	v_mov_b32_e32 v18, s11
	v_mov_b32_e32 v1, v2
	;; [unrolled: 1-line block ×3, first 2 shown]
	v_readfirstlane_b32 s16, v13
	v_readfirstlane_b32 s17, v14
	v_mov_b32_e32 v17, s10
	v_mov_b32_e32 v16, s9
	;; [unrolled: 1-line block ×3, first 2 shown]
	s_nop 1
	global_store_dwordx4 v38, v[0:3], s[16:17]
	global_store_dwordx4 v38, v[15:18], s[16:17] offset:16
	global_store_dwordx4 v38, v[15:18], s[16:17] offset:32
	;; [unrolled: 1-line block ×3, first 2 shown]
	s_and_saveexec_b64 s[16:17], s[0:1]
	s_cbranch_execz .LBB3_939
; %bb.932:                              ;   in Loop: Header=BB3_5 Depth=1
	global_load_dwordx2 v[17:18], v2, s[2:3] offset:32 glc
	global_load_dwordx2 v[3:4], v2, s[2:3] offset:40
	v_mov_b32_e32 v15, s14
	v_mov_b32_e32 v16, s15
	s_waitcnt vmcnt(0)
	v_readfirstlane_b32 s18, v3
	v_readfirstlane_b32 s19, v4
	s_and_b64 s[18:19], s[18:19], s[14:15]
	s_mul_i32 s19, s19, 24
	s_mul_hi_u32 s20, s18, 24
	s_mul_i32 s18, s18, 24
	s_add_i32 s19, s20, s19
	v_mov_b32_e32 v1, s19
	v_add_co_u32_e32 v3, vcc, s18, v7
	v_addc_co_u32_e32 v4, vcc, v8, v1, vcc
	global_store_dwordx2 v[3:4], v[17:18], off
	s_waitcnt vmcnt(0)
	global_atomic_cmpswap_x2 v[9:10], v2, v[15:18], s[2:3] offset:32 glc
	s_waitcnt vmcnt(0)
	v_cmp_ne_u64_e32 vcc, v[9:10], v[17:18]
	s_and_saveexec_b64 s[18:19], vcc
	s_cbranch_execz .LBB3_935
; %bb.933:                              ;   in Loop: Header=BB3_5 Depth=1
	s_mov_b64 s[20:21], 0
.LBB3_934:                              ;   Parent Loop BB3_5 Depth=1
                                        ; =>  This Inner Loop Header: Depth=2
	s_sleep 1
	global_store_dwordx2 v[3:4], v[9:10], off
	v_mov_b32_e32 v7, s14
	v_mov_b32_e32 v8, s15
	s_waitcnt vmcnt(0)
	global_atomic_cmpswap_x2 v[7:8], v2, v[7:10], s[2:3] offset:32 glc
	s_waitcnt vmcnt(0)
	v_cmp_eq_u64_e32 vcc, v[7:8], v[9:10]
	v_mov_b32_e32 v10, v8
	s_or_b64 s[20:21], vcc, s[20:21]
	v_mov_b32_e32 v9, v7
	s_andn2_b64 exec, exec, s[20:21]
	s_cbranch_execnz .LBB3_934
.LBB3_935:                              ;   in Loop: Header=BB3_5 Depth=1
	s_or_b64 exec, exec, s[18:19]
	global_load_dwordx2 v[3:4], v2, s[2:3] offset:16
	s_mov_b64 s[20:21], exec
	v_mbcnt_lo_u32_b32 v1, s20, 0
	v_mbcnt_hi_u32_b32 v1, s21, v1
	v_cmp_eq_u32_e32 vcc, 0, v1
	s_and_saveexec_b64 s[18:19], vcc
	s_cbranch_execz .LBB3_937
; %bb.936:                              ;   in Loop: Header=BB3_5 Depth=1
	s_bcnt1_i32_b64 s20, s[20:21]
	v_mov_b32_e32 v1, s20
	s_waitcnt vmcnt(0)
	global_atomic_add_x2 v[3:4], v[1:2], off offset:8
.LBB3_937:                              ;   in Loop: Header=BB3_5 Depth=1
	s_or_b64 exec, exec, s[18:19]
	s_waitcnt vmcnt(0)
	global_load_dwordx2 v[7:8], v[3:4], off offset:16
	s_waitcnt vmcnt(0)
	v_cmp_eq_u64_e32 vcc, 0, v[7:8]
	s_cbranch_vccnz .LBB3_939
; %bb.938:                              ;   in Loop: Header=BB3_5 Depth=1
	global_load_dword v1, v[3:4], off offset:24
	s_waitcnt vmcnt(0)
	v_readfirstlane_b32 s18, v1
	s_and_b32 m0, s18, 0xffffff
	global_store_dwordx2 v[7:8], v[1:2], off
	s_sendmsg sendmsg(MSG_INTERRUPT)
.LBB3_939:                              ;   in Loop: Header=BB3_5 Depth=1
	s_or_b64 exec, exec, s[16:17]
	v_add_co_u32_e32 v3, vcc, v13, v38
	v_addc_co_u32_e32 v4, vcc, 0, v14, vcc
	s_branch .LBB3_943
.LBB3_940:                              ;   in Loop: Header=BB3_943 Depth=2
	s_or_b64 exec, exec, s[16:17]
	v_readfirstlane_b32 s16, v1
	s_cmp_eq_u32 s16, 0
	s_cbranch_scc1 .LBB3_942
; %bb.941:                              ;   in Loop: Header=BB3_943 Depth=2
	s_sleep 1
	s_cbranch_execnz .LBB3_943
	s_branch .LBB3_945
.LBB3_942:                              ;   in Loop: Header=BB3_5 Depth=1
	s_branch .LBB3_945
.LBB3_943:                              ;   Parent Loop BB3_5 Depth=1
                                        ; =>  This Inner Loop Header: Depth=2
	v_mov_b32_e32 v1, 1
	s_and_saveexec_b64 s[16:17], s[0:1]
	s_cbranch_execz .LBB3_940
; %bb.944:                              ;   in Loop: Header=BB3_943 Depth=2
	global_load_dword v1, v[11:12], off offset:20 glc
	s_waitcnt vmcnt(0)
	buffer_wbinvl1_vol
	v_and_b32_e32 v1, 1, v1
	s_branch .LBB3_940
.LBB3_945:                              ;   in Loop: Header=BB3_5 Depth=1
	global_load_dwordx2 v[11:12], v[3:4], off
	s_and_saveexec_b64 s[16:17], s[0:1]
	s_cbranch_execz .LBB3_949
; %bb.946:                              ;   in Loop: Header=BB3_5 Depth=1
	global_load_dwordx2 v[3:4], v2, s[2:3] offset:40
	global_load_dwordx2 v[15:16], v2, s[2:3] offset:24 glc
	global_load_dwordx2 v[7:8], v2, s[2:3]
	s_waitcnt vmcnt(2)
	v_readfirstlane_b32 s18, v3
	v_readfirstlane_b32 s19, v4
	s_add_u32 s20, s18, 1
	s_addc_u32 s21, s19, 0
	s_add_u32 s0, s20, s14
	s_addc_u32 s1, s21, s15
	s_cmp_eq_u64 s[0:1], 0
	s_cselect_b32 s1, s21, s1
	s_cselect_b32 s0, s20, s0
	s_and_b64 s[14:15], s[0:1], s[18:19]
	s_mul_i32 s15, s15, 24
	s_mul_hi_u32 s18, s14, 24
	s_mul_i32 s14, s14, 24
	s_add_i32 s15, s18, s15
	v_mov_b32_e32 v1, s15
	s_waitcnt vmcnt(0)
	v_add_co_u32_e32 v3, vcc, s14, v7
	v_addc_co_u32_e32 v4, vcc, v8, v1, vcc
	v_mov_b32_e32 v13, s0
	global_store_dwordx2 v[3:4], v[15:16], off
	v_mov_b32_e32 v14, s1
	s_waitcnt vmcnt(0)
	global_atomic_cmpswap_x2 v[9:10], v2, v[13:16], s[2:3] offset:24 glc
	s_waitcnt vmcnt(0)
	v_cmp_ne_u64_e32 vcc, v[9:10], v[15:16]
	s_and_b64 exec, exec, vcc
	s_cbranch_execz .LBB3_949
; %bb.947:                              ;   in Loop: Header=BB3_5 Depth=1
	s_mov_b64 s[14:15], 0
.LBB3_948:                              ;   Parent Loop BB3_5 Depth=1
                                        ; =>  This Inner Loop Header: Depth=2
	s_sleep 1
	global_store_dwordx2 v[3:4], v[9:10], off
	v_mov_b32_e32 v7, s0
	v_mov_b32_e32 v8, s1
	s_waitcnt vmcnt(0)
	global_atomic_cmpswap_x2 v[7:8], v2, v[7:10], s[2:3] offset:24 glc
	s_waitcnt vmcnt(0)
	v_cmp_eq_u64_e32 vcc, v[7:8], v[9:10]
	v_mov_b32_e32 v10, v8
	s_or_b64 s[14:15], vcc, s[14:15]
	v_mov_b32_e32 v9, v7
	s_andn2_b64 exec, exec, s[14:15]
	s_cbranch_execnz .LBB3_948
.LBB3_949:                              ;   in Loop: Header=BB3_5 Depth=1
	s_or_b64 exec, exec, s[16:17]
	s_and_b64 vcc, exec, s[6:7]
	s_cbranch_vccz .LBB3_1121
; %bb.950:                              ;   in Loop: Header=BB3_5 Depth=1
	s_waitcnt vmcnt(0)
	v_and_b32_e32 v39, 2, v11
	v_and_b32_e32 v7, -3, v11
	v_mov_b32_e32 v8, v12
	s_mov_b64 s[16:17], 9
	s_getpc_b64 s[14:15]
	s_add_u32 s14, s14, .str.5@rel32@lo+4
	s_addc_u32 s15, s15, .str.5@rel32@hi+12
	s_branch .LBB3_952
.LBB3_951:                              ;   in Loop: Header=BB3_952 Depth=2
	s_or_b64 exec, exec, s[22:23]
	s_sub_u32 s16, s16, s18
	s_subb_u32 s17, s17, s19
	s_add_u32 s14, s14, s18
	s_addc_u32 s15, s15, s19
	s_cmp_lg_u64 s[16:17], 0
	s_cbranch_scc0 .LBB3_1034
.LBB3_952:                              ;   Parent Loop BB3_5 Depth=1
                                        ; =>  This Loop Header: Depth=2
                                        ;       Child Loop BB3_955 Depth 3
                                        ;       Child Loop BB3_963 Depth 3
	;; [unrolled: 1-line block ×11, first 2 shown]
	v_cmp_lt_u64_e64 s[0:1], s[16:17], 56
	v_cmp_gt_u64_e64 s[20:21], s[16:17], 7
	s_and_b64 s[0:1], s[0:1], exec
	s_cselect_b32 s19, s17, 0
	s_cselect_b32 s18, s16, 56
	s_add_u32 s0, s14, 8
	s_addc_u32 s1, s15, 0
	s_and_b64 vcc, exec, s[20:21]
	s_cbranch_vccnz .LBB3_956
; %bb.953:                              ;   in Loop: Header=BB3_952 Depth=2
	s_cmp_eq_u64 s[16:17], 0
	s_cbranch_scc1 .LBB3_957
; %bb.954:                              ;   in Loop: Header=BB3_952 Depth=2
	v_mov_b32_e32 v9, 0
	s_lshl_b64 s[0:1], s[18:19], 3
	s_mov_b64 s[20:21], 0
	v_mov_b32_e32 v10, 0
	s_mov_b64 s[22:23], s[14:15]
.LBB3_955:                              ;   Parent Loop BB3_5 Depth=1
                                        ;     Parent Loop BB3_952 Depth=2
                                        ; =>    This Inner Loop Header: Depth=3
	global_load_ubyte v1, v2, s[22:23]
	s_waitcnt vmcnt(0)
	v_and_b32_e32 v1, 0xffff, v1
	v_lshlrev_b64 v[3:4], s20, v[1:2]
	s_add_u32 s20, s20, 8
	s_addc_u32 s21, s21, 0
	s_add_u32 s22, s22, 1
	s_addc_u32 s23, s23, 0
	v_or_b32_e32 v9, v3, v9
	s_cmp_lg_u32 s0, s20
	v_or_b32_e32 v10, v4, v10
	s_cbranch_scc1 .LBB3_955
	s_branch .LBB3_958
.LBB3_956:                              ;   in Loop: Header=BB3_952 Depth=2
	s_mov_b32 s24, 0
	s_branch .LBB3_959
.LBB3_957:                              ;   in Loop: Header=BB3_952 Depth=2
	v_mov_b32_e32 v9, 0
	v_mov_b32_e32 v10, 0
.LBB3_958:                              ;   in Loop: Header=BB3_952 Depth=2
	s_mov_b64 s[0:1], s[14:15]
	s_mov_b32 s24, 0
	s_cbranch_execnz .LBB3_960
.LBB3_959:                              ;   in Loop: Header=BB3_952 Depth=2
	global_load_dwordx2 v[9:10], v2, s[14:15]
	s_add_i32 s24, s18, -8
.LBB3_960:                              ;   in Loop: Header=BB3_952 Depth=2
	s_add_u32 s20, s0, 8
	s_addc_u32 s21, s1, 0
	s_cmp_gt_u32 s24, 7
	s_cbranch_scc1 .LBB3_964
; %bb.961:                              ;   in Loop: Header=BB3_952 Depth=2
	s_cmp_eq_u32 s24, 0
	s_cbranch_scc1 .LBB3_965
; %bb.962:                              ;   in Loop: Header=BB3_952 Depth=2
	v_mov_b32_e32 v13, 0
	s_mov_b64 s[20:21], 0
	v_mov_b32_e32 v14, 0
	s_mov_b64 s[22:23], 0
.LBB3_963:                              ;   Parent Loop BB3_5 Depth=1
                                        ;     Parent Loop BB3_952 Depth=2
                                        ; =>    This Inner Loop Header: Depth=3
	s_add_u32 s26, s0, s22
	s_addc_u32 s27, s1, s23
	global_load_ubyte v1, v2, s[26:27]
	s_add_u32 s22, s22, 1
	s_addc_u32 s23, s23, 0
	s_waitcnt vmcnt(0)
	v_and_b32_e32 v1, 0xffff, v1
	v_lshlrev_b64 v[3:4], s20, v[1:2]
	s_add_u32 s20, s20, 8
	s_addc_u32 s21, s21, 0
	v_or_b32_e32 v13, v3, v13
	s_cmp_lg_u32 s24, s22
	v_or_b32_e32 v14, v4, v14
	s_cbranch_scc1 .LBB3_963
	s_branch .LBB3_966
.LBB3_964:                              ;   in Loop: Header=BB3_952 Depth=2
                                        ; implicit-def: $vgpr13_vgpr14
	s_mov_b32 s25, 0
	s_branch .LBB3_967
.LBB3_965:                              ;   in Loop: Header=BB3_952 Depth=2
	v_mov_b32_e32 v13, 0
	v_mov_b32_e32 v14, 0
.LBB3_966:                              ;   in Loop: Header=BB3_952 Depth=2
	s_mov_b64 s[20:21], s[0:1]
	s_mov_b32 s25, 0
	s_cbranch_execnz .LBB3_968
.LBB3_967:                              ;   in Loop: Header=BB3_952 Depth=2
	global_load_dwordx2 v[13:14], v2, s[0:1]
	s_add_i32 s25, s24, -8
.LBB3_968:                              ;   in Loop: Header=BB3_952 Depth=2
	s_add_u32 s0, s20, 8
	s_addc_u32 s1, s21, 0
	s_cmp_gt_u32 s25, 7
	s_cbranch_scc1 .LBB3_972
; %bb.969:                              ;   in Loop: Header=BB3_952 Depth=2
	s_cmp_eq_u32 s25, 0
	s_cbranch_scc1 .LBB3_973
; %bb.970:                              ;   in Loop: Header=BB3_952 Depth=2
	v_mov_b32_e32 v15, 0
	s_mov_b64 s[0:1], 0
	v_mov_b32_e32 v16, 0
	s_mov_b64 s[22:23], 0
.LBB3_971:                              ;   Parent Loop BB3_5 Depth=1
                                        ;     Parent Loop BB3_952 Depth=2
                                        ; =>    This Inner Loop Header: Depth=3
	s_add_u32 s26, s20, s22
	s_addc_u32 s27, s21, s23
	global_load_ubyte v1, v2, s[26:27]
	s_add_u32 s22, s22, 1
	s_addc_u32 s23, s23, 0
	s_waitcnt vmcnt(0)
	v_and_b32_e32 v1, 0xffff, v1
	v_lshlrev_b64 v[3:4], s0, v[1:2]
	s_add_u32 s0, s0, 8
	s_addc_u32 s1, s1, 0
	v_or_b32_e32 v15, v3, v15
	s_cmp_lg_u32 s25, s22
	v_or_b32_e32 v16, v4, v16
	s_cbranch_scc1 .LBB3_971
	s_branch .LBB3_974
.LBB3_972:                              ;   in Loop: Header=BB3_952 Depth=2
	s_mov_b32 s24, 0
	s_branch .LBB3_975
.LBB3_973:                              ;   in Loop: Header=BB3_952 Depth=2
	v_mov_b32_e32 v15, 0
	v_mov_b32_e32 v16, 0
.LBB3_974:                              ;   in Loop: Header=BB3_952 Depth=2
	s_mov_b64 s[0:1], s[20:21]
	s_mov_b32 s24, 0
	s_cbranch_execnz .LBB3_976
.LBB3_975:                              ;   in Loop: Header=BB3_952 Depth=2
	global_load_dwordx2 v[15:16], v2, s[20:21]
	s_add_i32 s24, s25, -8
.LBB3_976:                              ;   in Loop: Header=BB3_952 Depth=2
	s_add_u32 s20, s0, 8
	s_addc_u32 s21, s1, 0
	s_cmp_gt_u32 s24, 7
	s_cbranch_scc1 .LBB3_980
; %bb.977:                              ;   in Loop: Header=BB3_952 Depth=2
	s_cmp_eq_u32 s24, 0
	s_cbranch_scc1 .LBB3_981
; %bb.978:                              ;   in Loop: Header=BB3_952 Depth=2
	v_mov_b32_e32 v17, 0
	s_mov_b64 s[20:21], 0
	v_mov_b32_e32 v18, 0
	s_mov_b64 s[22:23], 0
.LBB3_979:                              ;   Parent Loop BB3_5 Depth=1
                                        ;     Parent Loop BB3_952 Depth=2
                                        ; =>    This Inner Loop Header: Depth=3
	s_add_u32 s26, s0, s22
	s_addc_u32 s27, s1, s23
	global_load_ubyte v1, v2, s[26:27]
	s_add_u32 s22, s22, 1
	s_addc_u32 s23, s23, 0
	s_waitcnt vmcnt(0)
	v_and_b32_e32 v1, 0xffff, v1
	v_lshlrev_b64 v[3:4], s20, v[1:2]
	s_add_u32 s20, s20, 8
	s_addc_u32 s21, s21, 0
	v_or_b32_e32 v17, v3, v17
	s_cmp_lg_u32 s24, s22
	v_or_b32_e32 v18, v4, v18
	s_cbranch_scc1 .LBB3_979
	s_branch .LBB3_982
.LBB3_980:                              ;   in Loop: Header=BB3_952 Depth=2
                                        ; implicit-def: $vgpr17_vgpr18
	s_mov_b32 s25, 0
	s_branch .LBB3_983
.LBB3_981:                              ;   in Loop: Header=BB3_952 Depth=2
	v_mov_b32_e32 v17, 0
	v_mov_b32_e32 v18, 0
.LBB3_982:                              ;   in Loop: Header=BB3_952 Depth=2
	s_mov_b64 s[20:21], s[0:1]
	s_mov_b32 s25, 0
	s_cbranch_execnz .LBB3_984
.LBB3_983:                              ;   in Loop: Header=BB3_952 Depth=2
	global_load_dwordx2 v[17:18], v2, s[0:1]
	s_add_i32 s25, s24, -8
.LBB3_984:                              ;   in Loop: Header=BB3_952 Depth=2
	s_add_u32 s0, s20, 8
	s_addc_u32 s1, s21, 0
	s_cmp_gt_u32 s25, 7
	s_cbranch_scc1 .LBB3_988
; %bb.985:                              ;   in Loop: Header=BB3_952 Depth=2
	s_cmp_eq_u32 s25, 0
	s_cbranch_scc1 .LBB3_989
; %bb.986:                              ;   in Loop: Header=BB3_952 Depth=2
	v_mov_b32_e32 v19, 0
	s_mov_b64 s[0:1], 0
	v_mov_b32_e32 v20, 0
	s_mov_b64 s[22:23], 0
.LBB3_987:                              ;   Parent Loop BB3_5 Depth=1
                                        ;     Parent Loop BB3_952 Depth=2
                                        ; =>    This Inner Loop Header: Depth=3
	s_add_u32 s26, s20, s22
	s_addc_u32 s27, s21, s23
	global_load_ubyte v1, v2, s[26:27]
	s_add_u32 s22, s22, 1
	s_addc_u32 s23, s23, 0
	s_waitcnt vmcnt(0)
	v_and_b32_e32 v1, 0xffff, v1
	v_lshlrev_b64 v[3:4], s0, v[1:2]
	s_add_u32 s0, s0, 8
	s_addc_u32 s1, s1, 0
	v_or_b32_e32 v19, v3, v19
	s_cmp_lg_u32 s25, s22
	v_or_b32_e32 v20, v4, v20
	s_cbranch_scc1 .LBB3_987
	s_branch .LBB3_990
.LBB3_988:                              ;   in Loop: Header=BB3_952 Depth=2
	s_mov_b32 s24, 0
	s_branch .LBB3_991
.LBB3_989:                              ;   in Loop: Header=BB3_952 Depth=2
	v_mov_b32_e32 v19, 0
	v_mov_b32_e32 v20, 0
.LBB3_990:                              ;   in Loop: Header=BB3_952 Depth=2
	s_mov_b64 s[0:1], s[20:21]
	s_mov_b32 s24, 0
	s_cbranch_execnz .LBB3_992
.LBB3_991:                              ;   in Loop: Header=BB3_952 Depth=2
	global_load_dwordx2 v[19:20], v2, s[20:21]
	s_add_i32 s24, s25, -8
.LBB3_992:                              ;   in Loop: Header=BB3_952 Depth=2
	s_add_u32 s20, s0, 8
	s_addc_u32 s21, s1, 0
	s_cmp_gt_u32 s24, 7
	s_cbranch_scc1 .LBB3_996
; %bb.993:                              ;   in Loop: Header=BB3_952 Depth=2
	s_cmp_eq_u32 s24, 0
	s_cbranch_scc1 .LBB3_997
; %bb.994:                              ;   in Loop: Header=BB3_952 Depth=2
	v_mov_b32_e32 v21, 0
	s_mov_b64 s[20:21], 0
	v_mov_b32_e32 v22, 0
	s_mov_b64 s[22:23], 0
.LBB3_995:                              ;   Parent Loop BB3_5 Depth=1
                                        ;     Parent Loop BB3_952 Depth=2
                                        ; =>    This Inner Loop Header: Depth=3
	s_add_u32 s26, s0, s22
	s_addc_u32 s27, s1, s23
	global_load_ubyte v1, v2, s[26:27]
	s_add_u32 s22, s22, 1
	s_addc_u32 s23, s23, 0
	s_waitcnt vmcnt(0)
	v_and_b32_e32 v1, 0xffff, v1
	v_lshlrev_b64 v[3:4], s20, v[1:2]
	s_add_u32 s20, s20, 8
	s_addc_u32 s21, s21, 0
	v_or_b32_e32 v21, v3, v21
	s_cmp_lg_u32 s24, s22
	v_or_b32_e32 v22, v4, v22
	s_cbranch_scc1 .LBB3_995
	s_branch .LBB3_998
.LBB3_996:                              ;   in Loop: Header=BB3_952 Depth=2
                                        ; implicit-def: $vgpr21_vgpr22
	s_mov_b32 s25, 0
	s_branch .LBB3_999
.LBB3_997:                              ;   in Loop: Header=BB3_952 Depth=2
	v_mov_b32_e32 v21, 0
	v_mov_b32_e32 v22, 0
.LBB3_998:                              ;   in Loop: Header=BB3_952 Depth=2
	s_mov_b64 s[20:21], s[0:1]
	s_mov_b32 s25, 0
	s_cbranch_execnz .LBB3_1000
.LBB3_999:                              ;   in Loop: Header=BB3_952 Depth=2
	global_load_dwordx2 v[21:22], v2, s[0:1]
	s_add_i32 s25, s24, -8
.LBB3_1000:                             ;   in Loop: Header=BB3_952 Depth=2
	s_cmp_gt_u32 s25, 7
	s_cbranch_scc1 .LBB3_1004
; %bb.1001:                             ;   in Loop: Header=BB3_952 Depth=2
	s_cmp_eq_u32 s25, 0
	s_cbranch_scc1 .LBB3_1005
; %bb.1002:                             ;   in Loop: Header=BB3_952 Depth=2
	v_mov_b32_e32 v23, 0
	s_mov_b64 s[0:1], 0
	v_mov_b32_e32 v24, 0
	s_mov_b64 s[22:23], s[20:21]
.LBB3_1003:                             ;   Parent Loop BB3_5 Depth=1
                                        ;     Parent Loop BB3_952 Depth=2
                                        ; =>    This Inner Loop Header: Depth=3
	global_load_ubyte v1, v2, s[22:23]
	s_add_i32 s25, s25, -1
	s_waitcnt vmcnt(0)
	v_and_b32_e32 v1, 0xffff, v1
	v_lshlrev_b64 v[3:4], s0, v[1:2]
	s_add_u32 s0, s0, 8
	s_addc_u32 s1, s1, 0
	s_add_u32 s22, s22, 1
	s_addc_u32 s23, s23, 0
	v_or_b32_e32 v23, v3, v23
	s_cmp_lg_u32 s25, 0
	v_or_b32_e32 v24, v4, v24
	s_cbranch_scc1 .LBB3_1003
	s_branch .LBB3_1006
.LBB3_1004:                             ;   in Loop: Header=BB3_952 Depth=2
	s_branch .LBB3_1007
.LBB3_1005:                             ;   in Loop: Header=BB3_952 Depth=2
	v_mov_b32_e32 v23, 0
	v_mov_b32_e32 v24, 0
.LBB3_1006:                             ;   in Loop: Header=BB3_952 Depth=2
	s_cbranch_execnz .LBB3_1008
.LBB3_1007:                             ;   in Loop: Header=BB3_952 Depth=2
	global_load_dwordx2 v[23:24], v2, s[20:21]
.LBB3_1008:                             ;   in Loop: Header=BB3_952 Depth=2
	v_readfirstlane_b32 s0, v36
	v_mov_b32_e32 v3, 0
	v_mov_b32_e32 v4, 0
	v_cmp_eq_u32_e64 s[0:1], s0, v36
	s_and_saveexec_b64 s[20:21], s[0:1]
	s_cbranch_execz .LBB3_1014
; %bb.1009:                             ;   in Loop: Header=BB3_952 Depth=2
	global_load_dwordx2 v[27:28], v2, s[2:3] offset:24 glc
	s_waitcnt vmcnt(0)
	buffer_wbinvl1_vol
	global_load_dwordx2 v[3:4], v2, s[2:3] offset:40
	global_load_dwordx2 v[25:26], v2, s[2:3]
	s_waitcnt vmcnt(1)
	v_and_b32_e32 v1, v3, v27
	v_and_b32_e32 v3, v4, v28
	v_mul_lo_u32 v3, v3, 24
	v_mul_hi_u32 v4, v1, 24
	v_mul_lo_u32 v1, v1, 24
	v_add_u32_e32 v4, v4, v3
	s_waitcnt vmcnt(0)
	v_add_co_u32_e32 v3, vcc, v25, v1
	v_addc_co_u32_e32 v4, vcc, v26, v4, vcc
	global_load_dwordx2 v[25:26], v[3:4], off glc
	s_waitcnt vmcnt(0)
	global_atomic_cmpswap_x2 v[3:4], v2, v[25:28], s[2:3] offset:24 glc
	s_waitcnt vmcnt(0)
	buffer_wbinvl1_vol
	v_cmp_ne_u64_e32 vcc, v[3:4], v[27:28]
	s_and_saveexec_b64 s[22:23], vcc
	s_cbranch_execz .LBB3_1013
; %bb.1010:                             ;   in Loop: Header=BB3_952 Depth=2
	s_mov_b64 s[24:25], 0
.LBB3_1011:                             ;   Parent Loop BB3_5 Depth=1
                                        ;     Parent Loop BB3_952 Depth=2
                                        ; =>    This Inner Loop Header: Depth=3
	s_sleep 1
	global_load_dwordx2 v[25:26], v2, s[2:3] offset:40
	global_load_dwordx2 v[34:35], v2, s[2:3]
	v_mov_b32_e32 v28, v4
	v_mov_b32_e32 v27, v3
	s_waitcnt vmcnt(1)
	v_and_b32_e32 v1, v25, v27
	s_waitcnt vmcnt(0)
	v_mad_u64_u32 v[3:4], s[26:27], v1, 24, v[34:35]
	v_and_b32_e32 v25, v26, v28
	v_mov_b32_e32 v1, v4
	v_mad_u64_u32 v[25:26], s[26:27], v25, 24, v[1:2]
	v_mov_b32_e32 v4, v25
	global_load_dwordx2 v[25:26], v[3:4], off glc
	s_waitcnt vmcnt(0)
	global_atomic_cmpswap_x2 v[3:4], v2, v[25:28], s[2:3] offset:24 glc
	s_waitcnt vmcnt(0)
	buffer_wbinvl1_vol
	v_cmp_eq_u64_e32 vcc, v[3:4], v[27:28]
	s_or_b64 s[24:25], vcc, s[24:25]
	s_andn2_b64 exec, exec, s[24:25]
	s_cbranch_execnz .LBB3_1011
; %bb.1012:                             ;   in Loop: Header=BB3_952 Depth=2
	s_or_b64 exec, exec, s[24:25]
.LBB3_1013:                             ;   in Loop: Header=BB3_952 Depth=2
	s_or_b64 exec, exec, s[22:23]
.LBB3_1014:                             ;   in Loop: Header=BB3_952 Depth=2
	s_or_b64 exec, exec, s[20:21]
	global_load_dwordx2 v[34:35], v2, s[2:3] offset:40
	global_load_dwordx4 v[25:28], v2, s[2:3]
	v_readfirstlane_b32 s21, v4
	v_readfirstlane_b32 s20, v3
	s_mov_b64 s[22:23], exec
	s_waitcnt vmcnt(1)
	v_readfirstlane_b32 s24, v34
	v_readfirstlane_b32 s25, v35
	s_and_b64 s[24:25], s[24:25], s[20:21]
	s_mul_i32 s26, s25, 24
	s_mul_hi_u32 s27, s24, 24
	s_mul_i32 s33, s24, 24
	s_add_i32 s26, s27, s26
	v_mov_b32_e32 v1, s26
	s_waitcnt vmcnt(0)
	v_add_co_u32_e32 v34, vcc, s33, v25
	v_addc_co_u32_e32 v35, vcc, v26, v1, vcc
	s_and_saveexec_b64 s[26:27], s[0:1]
	s_cbranch_execz .LBB3_1016
; %bb.1015:                             ;   in Loop: Header=BB3_952 Depth=2
	v_mov_b32_e32 v3, s22
	v_mov_b32_e32 v4, s23
	global_store_dwordx4 v[34:35], v[3:6], off offset:8
.LBB3_1016:                             ;   in Loop: Header=BB3_952 Depth=2
	s_or_b64 exec, exec, s[26:27]
	s_lshl_b64 s[22:23], s[24:25], 12
	v_mov_b32_e32 v1, s23
	v_add_co_u32_e32 v27, vcc, s22, v27
	v_addc_co_u32_e32 v28, vcc, v28, v1, vcc
	v_cmp_lt_u64_e64 vcc, s[16:17], 57
	s_lshl_b32 s22, s18, 2
	v_cndmask_b32_e32 v1, 0, v39, vcc
	s_add_i32 s22, s22, 28
	v_and_b32_e32 v3, 0xffffff1f, v7
	s_and_b32 s22, s22, 0x1e0
	v_or_b32_e32 v1, v3, v1
	v_or_b32_e32 v7, s22, v1
	v_readfirstlane_b32 s22, v27
	v_readfirstlane_b32 s23, v28
	s_nop 4
	global_store_dwordx4 v38, v[7:10], s[22:23]
	global_store_dwordx4 v38, v[13:16], s[22:23] offset:16
	global_store_dwordx4 v38, v[17:20], s[22:23] offset:32
	;; [unrolled: 1-line block ×3, first 2 shown]
	s_and_saveexec_b64 s[22:23], s[0:1]
	s_cbranch_execz .LBB3_1024
; %bb.1017:                             ;   in Loop: Header=BB3_952 Depth=2
	global_load_dwordx2 v[15:16], v2, s[2:3] offset:32 glc
	global_load_dwordx2 v[3:4], v2, s[2:3] offset:40
	v_mov_b32_e32 v13, s20
	v_mov_b32_e32 v14, s21
	s_waitcnt vmcnt(0)
	v_readfirstlane_b32 s24, v3
	v_readfirstlane_b32 s25, v4
	s_and_b64 s[24:25], s[24:25], s[20:21]
	s_mul_i32 s25, s25, 24
	s_mul_hi_u32 s26, s24, 24
	s_mul_i32 s24, s24, 24
	s_add_i32 s25, s26, s25
	v_mov_b32_e32 v1, s25
	v_add_co_u32_e32 v3, vcc, s24, v25
	v_addc_co_u32_e32 v4, vcc, v26, v1, vcc
	global_store_dwordx2 v[3:4], v[15:16], off
	s_waitcnt vmcnt(0)
	global_atomic_cmpswap_x2 v[9:10], v2, v[13:16], s[2:3] offset:32 glc
	s_waitcnt vmcnt(0)
	v_cmp_ne_u64_e32 vcc, v[9:10], v[15:16]
	s_and_saveexec_b64 s[24:25], vcc
	s_cbranch_execz .LBB3_1020
; %bb.1018:                             ;   in Loop: Header=BB3_952 Depth=2
	s_mov_b64 s[26:27], 0
.LBB3_1019:                             ;   Parent Loop BB3_5 Depth=1
                                        ;     Parent Loop BB3_952 Depth=2
                                        ; =>    This Inner Loop Header: Depth=3
	s_sleep 1
	global_store_dwordx2 v[3:4], v[9:10], off
	v_mov_b32_e32 v7, s20
	v_mov_b32_e32 v8, s21
	s_waitcnt vmcnt(0)
	global_atomic_cmpswap_x2 v[7:8], v2, v[7:10], s[2:3] offset:32 glc
	s_waitcnt vmcnt(0)
	v_cmp_eq_u64_e32 vcc, v[7:8], v[9:10]
	v_mov_b32_e32 v10, v8
	s_or_b64 s[26:27], vcc, s[26:27]
	v_mov_b32_e32 v9, v7
	s_andn2_b64 exec, exec, s[26:27]
	s_cbranch_execnz .LBB3_1019
.LBB3_1020:                             ;   in Loop: Header=BB3_952 Depth=2
	s_or_b64 exec, exec, s[24:25]
	global_load_dwordx2 v[3:4], v2, s[2:3] offset:16
	s_mov_b64 s[26:27], exec
	v_mbcnt_lo_u32_b32 v1, s26, 0
	v_mbcnt_hi_u32_b32 v1, s27, v1
	v_cmp_eq_u32_e32 vcc, 0, v1
	s_and_saveexec_b64 s[24:25], vcc
	s_cbranch_execz .LBB3_1022
; %bb.1021:                             ;   in Loop: Header=BB3_952 Depth=2
	s_bcnt1_i32_b64 s26, s[26:27]
	v_mov_b32_e32 v1, s26
	s_waitcnt vmcnt(0)
	global_atomic_add_x2 v[3:4], v[1:2], off offset:8
.LBB3_1022:                             ;   in Loop: Header=BB3_952 Depth=2
	s_or_b64 exec, exec, s[24:25]
	s_waitcnt vmcnt(0)
	global_load_dwordx2 v[7:8], v[3:4], off offset:16
	s_waitcnt vmcnt(0)
	v_cmp_eq_u64_e32 vcc, 0, v[7:8]
	s_cbranch_vccnz .LBB3_1024
; %bb.1023:                             ;   in Loop: Header=BB3_952 Depth=2
	global_load_dword v1, v[3:4], off offset:24
	s_waitcnt vmcnt(0)
	v_readfirstlane_b32 s24, v1
	s_and_b32 m0, s24, 0xffffff
	global_store_dwordx2 v[7:8], v[1:2], off
	s_sendmsg sendmsg(MSG_INTERRUPT)
.LBB3_1024:                             ;   in Loop: Header=BB3_952 Depth=2
	s_or_b64 exec, exec, s[22:23]
	v_add_co_u32_e32 v3, vcc, v27, v38
	v_addc_co_u32_e32 v4, vcc, 0, v28, vcc
	s_branch .LBB3_1028
.LBB3_1025:                             ;   in Loop: Header=BB3_1028 Depth=3
	s_or_b64 exec, exec, s[22:23]
	v_readfirstlane_b32 s22, v1
	s_cmp_eq_u32 s22, 0
	s_cbranch_scc1 .LBB3_1027
; %bb.1026:                             ;   in Loop: Header=BB3_1028 Depth=3
	s_sleep 1
	s_cbranch_execnz .LBB3_1028
	s_branch .LBB3_1030
.LBB3_1027:                             ;   in Loop: Header=BB3_952 Depth=2
	s_branch .LBB3_1030
.LBB3_1028:                             ;   Parent Loop BB3_5 Depth=1
                                        ;     Parent Loop BB3_952 Depth=2
                                        ; =>    This Inner Loop Header: Depth=3
	v_mov_b32_e32 v1, 1
	s_and_saveexec_b64 s[22:23], s[0:1]
	s_cbranch_execz .LBB3_1025
; %bb.1029:                             ;   in Loop: Header=BB3_1028 Depth=3
	global_load_dword v1, v[34:35], off offset:20 glc
	s_waitcnt vmcnt(0)
	buffer_wbinvl1_vol
	v_and_b32_e32 v1, 1, v1
	s_branch .LBB3_1025
.LBB3_1030:                             ;   in Loop: Header=BB3_952 Depth=2
	global_load_dwordx2 v[7:8], v[3:4], off
	s_and_saveexec_b64 s[22:23], s[0:1]
	s_cbranch_execz .LBB3_951
; %bb.1031:                             ;   in Loop: Header=BB3_952 Depth=2
	global_load_dwordx2 v[3:4], v2, s[2:3] offset:40
	global_load_dwordx2 v[17:18], v2, s[2:3] offset:24 glc
	global_load_dwordx2 v[9:10], v2, s[2:3]
	s_waitcnt vmcnt(2)
	v_readfirstlane_b32 s24, v3
	v_readfirstlane_b32 s25, v4
	s_add_u32 s26, s24, 1
	s_addc_u32 s27, s25, 0
	s_add_u32 s0, s26, s20
	s_addc_u32 s1, s27, s21
	s_cmp_eq_u64 s[0:1], 0
	s_cselect_b32 s1, s27, s1
	s_cselect_b32 s0, s26, s0
	s_and_b64 s[20:21], s[0:1], s[24:25]
	s_mul_i32 s21, s21, 24
	s_mul_hi_u32 s24, s20, 24
	s_mul_i32 s20, s20, 24
	s_add_i32 s21, s24, s21
	v_mov_b32_e32 v1, s21
	s_waitcnt vmcnt(0)
	v_add_co_u32_e32 v3, vcc, s20, v9
	v_addc_co_u32_e32 v4, vcc, v10, v1, vcc
	v_mov_b32_e32 v15, s0
	global_store_dwordx2 v[3:4], v[17:18], off
	v_mov_b32_e32 v16, s1
	s_waitcnt vmcnt(0)
	global_atomic_cmpswap_x2 v[15:16], v2, v[15:18], s[2:3] offset:24 glc
	s_waitcnt vmcnt(0)
	v_cmp_ne_u64_e32 vcc, v[15:16], v[17:18]
	s_and_b64 exec, exec, vcc
	s_cbranch_execz .LBB3_951
; %bb.1032:                             ;   in Loop: Header=BB3_952 Depth=2
	s_mov_b64 s[20:21], 0
.LBB3_1033:                             ;   Parent Loop BB3_5 Depth=1
                                        ;     Parent Loop BB3_952 Depth=2
                                        ; =>    This Inner Loop Header: Depth=3
	s_sleep 1
	global_store_dwordx2 v[3:4], v[15:16], off
	v_mov_b32_e32 v13, s0
	v_mov_b32_e32 v14, s1
	s_waitcnt vmcnt(0)
	global_atomic_cmpswap_x2 v[9:10], v2, v[13:16], s[2:3] offset:24 glc
	s_waitcnt vmcnt(0)
	v_cmp_eq_u64_e32 vcc, v[9:10], v[15:16]
	v_mov_b32_e32 v16, v10
	s_or_b64 s[20:21], vcc, s[20:21]
	v_mov_b32_e32 v15, v9
	s_andn2_b64 exec, exec, s[20:21]
	s_cbranch_execnz .LBB3_1033
	s_branch .LBB3_951
.LBB3_1034:                             ;   in Loop: Header=BB3_5 Depth=1
.LBB3_1035:                             ;   in Loop: Header=BB3_5 Depth=1
	s_and_b64 vcc, exec, s[12:13]
	s_cbranch_vccz .LBB3_1149
.LBB3_1036:                             ;   in Loop: Header=BB3_5 Depth=1
	s_waitcnt vmcnt(0)
	v_and_b32_e32 v39, 2, v7
	v_and_b32_e32 v9, -3, v7
	v_mov_b32_e32 v10, v8
	s_mov_b64 s[16:17], 56
	s_getpc_b64 s[14:15]
	s_add_u32 s14, s14, .str.4@rel32@lo+4
	s_addc_u32 s15, s15, .str.4@rel32@hi+12
	s_branch .LBB3_1038
.LBB3_1037:                             ;   in Loop: Header=BB3_1038 Depth=2
	s_or_b64 exec, exec, s[22:23]
	s_sub_u32 s16, s16, s18
	s_subb_u32 s17, s17, s19
	s_add_u32 s14, s14, s18
	s_addc_u32 s15, s15, s19
	s_cmp_lg_u64 s[16:17], 0
	s_cbranch_scc0 .LBB3_1120
.LBB3_1038:                             ;   Parent Loop BB3_5 Depth=1
                                        ; =>  This Loop Header: Depth=2
                                        ;       Child Loop BB3_1041 Depth 3
                                        ;       Child Loop BB3_1049 Depth 3
	;; [unrolled: 1-line block ×11, first 2 shown]
	v_cmp_lt_u64_e64 s[0:1], s[16:17], 56
	v_cmp_gt_u64_e64 s[20:21], s[16:17], 7
	s_and_b64 s[0:1], s[0:1], exec
	s_cselect_b32 s19, s17, 0
	s_cselect_b32 s18, s16, 56
	s_add_u32 s0, s14, 8
	s_addc_u32 s1, s15, 0
	s_and_b64 vcc, exec, s[20:21]
	s_cbranch_vccnz .LBB3_1042
; %bb.1039:                             ;   in Loop: Header=BB3_1038 Depth=2
	s_cmp_eq_u64 s[16:17], 0
	s_cbranch_scc1 .LBB3_1043
; %bb.1040:                             ;   in Loop: Header=BB3_1038 Depth=2
	v_mov_b32_e32 v11, 0
	s_lshl_b64 s[0:1], s[18:19], 3
	s_mov_b64 s[20:21], 0
	v_mov_b32_e32 v12, 0
	s_mov_b64 s[22:23], s[14:15]
.LBB3_1041:                             ;   Parent Loop BB3_5 Depth=1
                                        ;     Parent Loop BB3_1038 Depth=2
                                        ; =>    This Inner Loop Header: Depth=3
	global_load_ubyte v1, v2, s[22:23]
	s_waitcnt vmcnt(0)
	v_and_b32_e32 v1, 0xffff, v1
	v_lshlrev_b64 v[3:4], s20, v[1:2]
	s_add_u32 s20, s20, 8
	s_addc_u32 s21, s21, 0
	s_add_u32 s22, s22, 1
	s_addc_u32 s23, s23, 0
	v_or_b32_e32 v11, v3, v11
	s_cmp_lg_u32 s0, s20
	v_or_b32_e32 v12, v4, v12
	s_cbranch_scc1 .LBB3_1041
	s_branch .LBB3_1044
.LBB3_1042:                             ;   in Loop: Header=BB3_1038 Depth=2
	s_mov_b32 s24, 0
	s_branch .LBB3_1045
.LBB3_1043:                             ;   in Loop: Header=BB3_1038 Depth=2
	v_mov_b32_e32 v11, 0
	v_mov_b32_e32 v12, 0
.LBB3_1044:                             ;   in Loop: Header=BB3_1038 Depth=2
	s_mov_b64 s[0:1], s[14:15]
	s_mov_b32 s24, 0
	s_cbranch_execnz .LBB3_1046
.LBB3_1045:                             ;   in Loop: Header=BB3_1038 Depth=2
	global_load_dwordx2 v[11:12], v2, s[14:15]
	s_add_i32 s24, s18, -8
.LBB3_1046:                             ;   in Loop: Header=BB3_1038 Depth=2
	s_add_u32 s20, s0, 8
	s_addc_u32 s21, s1, 0
	s_cmp_gt_u32 s24, 7
	s_cbranch_scc1 .LBB3_1050
; %bb.1047:                             ;   in Loop: Header=BB3_1038 Depth=2
	s_cmp_eq_u32 s24, 0
	s_cbranch_scc1 .LBB3_1051
; %bb.1048:                             ;   in Loop: Header=BB3_1038 Depth=2
	v_mov_b32_e32 v13, 0
	s_mov_b64 s[20:21], 0
	v_mov_b32_e32 v14, 0
	s_mov_b64 s[22:23], 0
.LBB3_1049:                             ;   Parent Loop BB3_5 Depth=1
                                        ;     Parent Loop BB3_1038 Depth=2
                                        ; =>    This Inner Loop Header: Depth=3
	s_add_u32 s26, s0, s22
	s_addc_u32 s27, s1, s23
	global_load_ubyte v1, v2, s[26:27]
	s_add_u32 s22, s22, 1
	s_addc_u32 s23, s23, 0
	s_waitcnt vmcnt(0)
	v_and_b32_e32 v1, 0xffff, v1
	v_lshlrev_b64 v[3:4], s20, v[1:2]
	s_add_u32 s20, s20, 8
	s_addc_u32 s21, s21, 0
	v_or_b32_e32 v13, v3, v13
	s_cmp_lg_u32 s24, s22
	v_or_b32_e32 v14, v4, v14
	s_cbranch_scc1 .LBB3_1049
	s_branch .LBB3_1052
.LBB3_1050:                             ;   in Loop: Header=BB3_1038 Depth=2
                                        ; implicit-def: $vgpr13_vgpr14
	s_mov_b32 s25, 0
	s_branch .LBB3_1053
.LBB3_1051:                             ;   in Loop: Header=BB3_1038 Depth=2
	v_mov_b32_e32 v13, 0
	v_mov_b32_e32 v14, 0
.LBB3_1052:                             ;   in Loop: Header=BB3_1038 Depth=2
	s_mov_b64 s[20:21], s[0:1]
	s_mov_b32 s25, 0
	s_cbranch_execnz .LBB3_1054
.LBB3_1053:                             ;   in Loop: Header=BB3_1038 Depth=2
	global_load_dwordx2 v[13:14], v2, s[0:1]
	s_add_i32 s25, s24, -8
.LBB3_1054:                             ;   in Loop: Header=BB3_1038 Depth=2
	s_add_u32 s0, s20, 8
	s_addc_u32 s1, s21, 0
	s_cmp_gt_u32 s25, 7
	s_cbranch_scc1 .LBB3_1058
; %bb.1055:                             ;   in Loop: Header=BB3_1038 Depth=2
	s_cmp_eq_u32 s25, 0
	s_cbranch_scc1 .LBB3_1059
; %bb.1056:                             ;   in Loop: Header=BB3_1038 Depth=2
	v_mov_b32_e32 v15, 0
	s_mov_b64 s[0:1], 0
	v_mov_b32_e32 v16, 0
	s_mov_b64 s[22:23], 0
.LBB3_1057:                             ;   Parent Loop BB3_5 Depth=1
                                        ;     Parent Loop BB3_1038 Depth=2
                                        ; =>    This Inner Loop Header: Depth=3
	s_add_u32 s26, s20, s22
	s_addc_u32 s27, s21, s23
	global_load_ubyte v1, v2, s[26:27]
	s_add_u32 s22, s22, 1
	s_addc_u32 s23, s23, 0
	s_waitcnt vmcnt(0)
	v_and_b32_e32 v1, 0xffff, v1
	v_lshlrev_b64 v[3:4], s0, v[1:2]
	s_add_u32 s0, s0, 8
	s_addc_u32 s1, s1, 0
	v_or_b32_e32 v15, v3, v15
	s_cmp_lg_u32 s25, s22
	v_or_b32_e32 v16, v4, v16
	s_cbranch_scc1 .LBB3_1057
	s_branch .LBB3_1060
.LBB3_1058:                             ;   in Loop: Header=BB3_1038 Depth=2
	s_mov_b32 s24, 0
	s_branch .LBB3_1061
.LBB3_1059:                             ;   in Loop: Header=BB3_1038 Depth=2
	v_mov_b32_e32 v15, 0
	v_mov_b32_e32 v16, 0
.LBB3_1060:                             ;   in Loop: Header=BB3_1038 Depth=2
	s_mov_b64 s[0:1], s[20:21]
	s_mov_b32 s24, 0
	s_cbranch_execnz .LBB3_1062
.LBB3_1061:                             ;   in Loop: Header=BB3_1038 Depth=2
	global_load_dwordx2 v[15:16], v2, s[20:21]
	s_add_i32 s24, s25, -8
.LBB3_1062:                             ;   in Loop: Header=BB3_1038 Depth=2
	s_add_u32 s20, s0, 8
	s_addc_u32 s21, s1, 0
	s_cmp_gt_u32 s24, 7
	s_cbranch_scc1 .LBB3_1066
; %bb.1063:                             ;   in Loop: Header=BB3_1038 Depth=2
	s_cmp_eq_u32 s24, 0
	s_cbranch_scc1 .LBB3_1067
; %bb.1064:                             ;   in Loop: Header=BB3_1038 Depth=2
	v_mov_b32_e32 v17, 0
	s_mov_b64 s[20:21], 0
	v_mov_b32_e32 v18, 0
	s_mov_b64 s[22:23], 0
.LBB3_1065:                             ;   Parent Loop BB3_5 Depth=1
                                        ;     Parent Loop BB3_1038 Depth=2
                                        ; =>    This Inner Loop Header: Depth=3
	s_add_u32 s26, s0, s22
	s_addc_u32 s27, s1, s23
	global_load_ubyte v1, v2, s[26:27]
	s_add_u32 s22, s22, 1
	s_addc_u32 s23, s23, 0
	s_waitcnt vmcnt(0)
	v_and_b32_e32 v1, 0xffff, v1
	v_lshlrev_b64 v[3:4], s20, v[1:2]
	s_add_u32 s20, s20, 8
	s_addc_u32 s21, s21, 0
	v_or_b32_e32 v17, v3, v17
	s_cmp_lg_u32 s24, s22
	v_or_b32_e32 v18, v4, v18
	s_cbranch_scc1 .LBB3_1065
	s_branch .LBB3_1068
.LBB3_1066:                             ;   in Loop: Header=BB3_1038 Depth=2
                                        ; implicit-def: $vgpr17_vgpr18
	s_mov_b32 s25, 0
	s_branch .LBB3_1069
.LBB3_1067:                             ;   in Loop: Header=BB3_1038 Depth=2
	v_mov_b32_e32 v17, 0
	v_mov_b32_e32 v18, 0
.LBB3_1068:                             ;   in Loop: Header=BB3_1038 Depth=2
	s_mov_b64 s[20:21], s[0:1]
	s_mov_b32 s25, 0
	s_cbranch_execnz .LBB3_1070
.LBB3_1069:                             ;   in Loop: Header=BB3_1038 Depth=2
	global_load_dwordx2 v[17:18], v2, s[0:1]
	s_add_i32 s25, s24, -8
.LBB3_1070:                             ;   in Loop: Header=BB3_1038 Depth=2
	s_add_u32 s0, s20, 8
	s_addc_u32 s1, s21, 0
	s_cmp_gt_u32 s25, 7
	s_cbranch_scc1 .LBB3_1074
; %bb.1071:                             ;   in Loop: Header=BB3_1038 Depth=2
	s_cmp_eq_u32 s25, 0
	s_cbranch_scc1 .LBB3_1075
; %bb.1072:                             ;   in Loop: Header=BB3_1038 Depth=2
	v_mov_b32_e32 v19, 0
	s_mov_b64 s[0:1], 0
	v_mov_b32_e32 v20, 0
	s_mov_b64 s[22:23], 0
.LBB3_1073:                             ;   Parent Loop BB3_5 Depth=1
                                        ;     Parent Loop BB3_1038 Depth=2
                                        ; =>    This Inner Loop Header: Depth=3
	s_add_u32 s26, s20, s22
	s_addc_u32 s27, s21, s23
	global_load_ubyte v1, v2, s[26:27]
	s_add_u32 s22, s22, 1
	s_addc_u32 s23, s23, 0
	s_waitcnt vmcnt(0)
	v_and_b32_e32 v1, 0xffff, v1
	v_lshlrev_b64 v[3:4], s0, v[1:2]
	s_add_u32 s0, s0, 8
	s_addc_u32 s1, s1, 0
	v_or_b32_e32 v19, v3, v19
	s_cmp_lg_u32 s25, s22
	v_or_b32_e32 v20, v4, v20
	s_cbranch_scc1 .LBB3_1073
	s_branch .LBB3_1076
.LBB3_1074:                             ;   in Loop: Header=BB3_1038 Depth=2
	s_mov_b32 s24, 0
	s_branch .LBB3_1077
.LBB3_1075:                             ;   in Loop: Header=BB3_1038 Depth=2
	v_mov_b32_e32 v19, 0
	v_mov_b32_e32 v20, 0
.LBB3_1076:                             ;   in Loop: Header=BB3_1038 Depth=2
	s_mov_b64 s[0:1], s[20:21]
	s_mov_b32 s24, 0
	s_cbranch_execnz .LBB3_1078
.LBB3_1077:                             ;   in Loop: Header=BB3_1038 Depth=2
	global_load_dwordx2 v[19:20], v2, s[20:21]
	s_add_i32 s24, s25, -8
.LBB3_1078:                             ;   in Loop: Header=BB3_1038 Depth=2
	s_add_u32 s20, s0, 8
	s_addc_u32 s21, s1, 0
	s_cmp_gt_u32 s24, 7
	s_cbranch_scc1 .LBB3_1082
; %bb.1079:                             ;   in Loop: Header=BB3_1038 Depth=2
	s_cmp_eq_u32 s24, 0
	s_cbranch_scc1 .LBB3_1083
; %bb.1080:                             ;   in Loop: Header=BB3_1038 Depth=2
	v_mov_b32_e32 v21, 0
	s_mov_b64 s[20:21], 0
	v_mov_b32_e32 v22, 0
	s_mov_b64 s[22:23], 0
.LBB3_1081:                             ;   Parent Loop BB3_5 Depth=1
                                        ;     Parent Loop BB3_1038 Depth=2
                                        ; =>    This Inner Loop Header: Depth=3
	s_add_u32 s26, s0, s22
	s_addc_u32 s27, s1, s23
	global_load_ubyte v1, v2, s[26:27]
	s_add_u32 s22, s22, 1
	s_addc_u32 s23, s23, 0
	s_waitcnt vmcnt(0)
	v_and_b32_e32 v1, 0xffff, v1
	v_lshlrev_b64 v[3:4], s20, v[1:2]
	s_add_u32 s20, s20, 8
	s_addc_u32 s21, s21, 0
	v_or_b32_e32 v21, v3, v21
	s_cmp_lg_u32 s24, s22
	v_or_b32_e32 v22, v4, v22
	s_cbranch_scc1 .LBB3_1081
	s_branch .LBB3_1084
.LBB3_1082:                             ;   in Loop: Header=BB3_1038 Depth=2
                                        ; implicit-def: $vgpr21_vgpr22
	s_mov_b32 s25, 0
	s_branch .LBB3_1085
.LBB3_1083:                             ;   in Loop: Header=BB3_1038 Depth=2
	v_mov_b32_e32 v21, 0
	v_mov_b32_e32 v22, 0
.LBB3_1084:                             ;   in Loop: Header=BB3_1038 Depth=2
	s_mov_b64 s[20:21], s[0:1]
	s_mov_b32 s25, 0
	s_cbranch_execnz .LBB3_1086
.LBB3_1085:                             ;   in Loop: Header=BB3_1038 Depth=2
	global_load_dwordx2 v[21:22], v2, s[0:1]
	s_add_i32 s25, s24, -8
.LBB3_1086:                             ;   in Loop: Header=BB3_1038 Depth=2
	s_cmp_gt_u32 s25, 7
	s_cbranch_scc1 .LBB3_1090
; %bb.1087:                             ;   in Loop: Header=BB3_1038 Depth=2
	s_cmp_eq_u32 s25, 0
	s_cbranch_scc1 .LBB3_1091
; %bb.1088:                             ;   in Loop: Header=BB3_1038 Depth=2
	v_mov_b32_e32 v23, 0
	s_mov_b64 s[0:1], 0
	v_mov_b32_e32 v24, 0
	s_mov_b64 s[22:23], s[20:21]
.LBB3_1089:                             ;   Parent Loop BB3_5 Depth=1
                                        ;     Parent Loop BB3_1038 Depth=2
                                        ; =>    This Inner Loop Header: Depth=3
	global_load_ubyte v1, v2, s[22:23]
	s_add_i32 s25, s25, -1
	s_waitcnt vmcnt(0)
	v_and_b32_e32 v1, 0xffff, v1
	v_lshlrev_b64 v[3:4], s0, v[1:2]
	s_add_u32 s0, s0, 8
	s_addc_u32 s1, s1, 0
	s_add_u32 s22, s22, 1
	s_addc_u32 s23, s23, 0
	v_or_b32_e32 v23, v3, v23
	s_cmp_lg_u32 s25, 0
	v_or_b32_e32 v24, v4, v24
	s_cbranch_scc1 .LBB3_1089
	s_branch .LBB3_1092
.LBB3_1090:                             ;   in Loop: Header=BB3_1038 Depth=2
	s_branch .LBB3_1093
.LBB3_1091:                             ;   in Loop: Header=BB3_1038 Depth=2
	v_mov_b32_e32 v23, 0
	v_mov_b32_e32 v24, 0
.LBB3_1092:                             ;   in Loop: Header=BB3_1038 Depth=2
	s_cbranch_execnz .LBB3_1094
.LBB3_1093:                             ;   in Loop: Header=BB3_1038 Depth=2
	global_load_dwordx2 v[23:24], v2, s[20:21]
.LBB3_1094:                             ;   in Loop: Header=BB3_1038 Depth=2
	v_readfirstlane_b32 s0, v36
	v_mov_b32_e32 v3, 0
	v_mov_b32_e32 v4, 0
	v_cmp_eq_u32_e64 s[0:1], s0, v36
	s_and_saveexec_b64 s[20:21], s[0:1]
	s_cbranch_execz .LBB3_1100
; %bb.1095:                             ;   in Loop: Header=BB3_1038 Depth=2
	global_load_dwordx2 v[27:28], v2, s[2:3] offset:24 glc
	s_waitcnt vmcnt(0)
	buffer_wbinvl1_vol
	global_load_dwordx2 v[3:4], v2, s[2:3] offset:40
	global_load_dwordx2 v[25:26], v2, s[2:3]
	s_waitcnt vmcnt(1)
	v_and_b32_e32 v1, v3, v27
	v_and_b32_e32 v3, v4, v28
	v_mul_lo_u32 v3, v3, 24
	v_mul_hi_u32 v4, v1, 24
	v_mul_lo_u32 v1, v1, 24
	v_add_u32_e32 v4, v4, v3
	s_waitcnt vmcnt(0)
	v_add_co_u32_e32 v3, vcc, v25, v1
	v_addc_co_u32_e32 v4, vcc, v26, v4, vcc
	global_load_dwordx2 v[25:26], v[3:4], off glc
	s_waitcnt vmcnt(0)
	global_atomic_cmpswap_x2 v[3:4], v2, v[25:28], s[2:3] offset:24 glc
	s_waitcnt vmcnt(0)
	buffer_wbinvl1_vol
	v_cmp_ne_u64_e32 vcc, v[3:4], v[27:28]
	s_and_saveexec_b64 s[22:23], vcc
	s_cbranch_execz .LBB3_1099
; %bb.1096:                             ;   in Loop: Header=BB3_1038 Depth=2
	s_mov_b64 s[24:25], 0
.LBB3_1097:                             ;   Parent Loop BB3_5 Depth=1
                                        ;     Parent Loop BB3_1038 Depth=2
                                        ; =>    This Inner Loop Header: Depth=3
	s_sleep 1
	global_load_dwordx2 v[25:26], v2, s[2:3] offset:40
	global_load_dwordx2 v[34:35], v2, s[2:3]
	v_mov_b32_e32 v28, v4
	v_mov_b32_e32 v27, v3
	s_waitcnt vmcnt(1)
	v_and_b32_e32 v1, v25, v27
	s_waitcnt vmcnt(0)
	v_mad_u64_u32 v[3:4], s[26:27], v1, 24, v[34:35]
	v_and_b32_e32 v25, v26, v28
	v_mov_b32_e32 v1, v4
	v_mad_u64_u32 v[25:26], s[26:27], v25, 24, v[1:2]
	v_mov_b32_e32 v4, v25
	global_load_dwordx2 v[25:26], v[3:4], off glc
	s_waitcnt vmcnt(0)
	global_atomic_cmpswap_x2 v[3:4], v2, v[25:28], s[2:3] offset:24 glc
	s_waitcnt vmcnt(0)
	buffer_wbinvl1_vol
	v_cmp_eq_u64_e32 vcc, v[3:4], v[27:28]
	s_or_b64 s[24:25], vcc, s[24:25]
	s_andn2_b64 exec, exec, s[24:25]
	s_cbranch_execnz .LBB3_1097
; %bb.1098:                             ;   in Loop: Header=BB3_1038 Depth=2
	s_or_b64 exec, exec, s[24:25]
.LBB3_1099:                             ;   in Loop: Header=BB3_1038 Depth=2
	s_or_b64 exec, exec, s[22:23]
.LBB3_1100:                             ;   in Loop: Header=BB3_1038 Depth=2
	s_or_b64 exec, exec, s[20:21]
	global_load_dwordx2 v[34:35], v2, s[2:3] offset:40
	global_load_dwordx4 v[25:28], v2, s[2:3]
	v_readfirstlane_b32 s21, v4
	v_readfirstlane_b32 s20, v3
	s_mov_b64 s[22:23], exec
	s_waitcnt vmcnt(1)
	v_readfirstlane_b32 s24, v34
	v_readfirstlane_b32 s25, v35
	s_and_b64 s[24:25], s[24:25], s[20:21]
	s_mul_i32 s26, s25, 24
	s_mul_hi_u32 s27, s24, 24
	s_mul_i32 s33, s24, 24
	s_add_i32 s26, s27, s26
	v_mov_b32_e32 v1, s26
	s_waitcnt vmcnt(0)
	v_add_co_u32_e32 v34, vcc, s33, v25
	v_addc_co_u32_e32 v35, vcc, v26, v1, vcc
	s_and_saveexec_b64 s[26:27], s[0:1]
	s_cbranch_execz .LBB3_1102
; %bb.1101:                             ;   in Loop: Header=BB3_1038 Depth=2
	v_mov_b32_e32 v3, s22
	v_mov_b32_e32 v4, s23
	global_store_dwordx4 v[34:35], v[3:6], off offset:8
.LBB3_1102:                             ;   in Loop: Header=BB3_1038 Depth=2
	s_or_b64 exec, exec, s[26:27]
	s_lshl_b64 s[22:23], s[24:25], 12
	v_mov_b32_e32 v1, s23
	v_add_co_u32_e32 v27, vcc, s22, v27
	v_addc_co_u32_e32 v28, vcc, v28, v1, vcc
	v_cmp_lt_u64_e64 vcc, s[16:17], 57
	s_lshl_b32 s22, s18, 2
	v_cndmask_b32_e32 v1, 0, v39, vcc
	s_add_i32 s22, s22, 28
	v_and_b32_e32 v3, 0xffffff1f, v9
	s_and_b32 s22, s22, 0x1e0
	v_or_b32_e32 v1, v3, v1
	v_or_b32_e32 v9, s22, v1
	v_readfirstlane_b32 s22, v27
	v_readfirstlane_b32 s23, v28
	s_nop 4
	global_store_dwordx4 v38, v[9:12], s[22:23]
	global_store_dwordx4 v38, v[13:16], s[22:23] offset:16
	global_store_dwordx4 v38, v[17:20], s[22:23] offset:32
	;; [unrolled: 1-line block ×3, first 2 shown]
	s_and_saveexec_b64 s[22:23], s[0:1]
	s_cbranch_execz .LBB3_1110
; %bb.1103:                             ;   in Loop: Header=BB3_1038 Depth=2
	global_load_dwordx2 v[13:14], v2, s[2:3] offset:32 glc
	global_load_dwordx2 v[3:4], v2, s[2:3] offset:40
	v_mov_b32_e32 v11, s20
	v_mov_b32_e32 v12, s21
	s_waitcnt vmcnt(0)
	v_readfirstlane_b32 s24, v3
	v_readfirstlane_b32 s25, v4
	s_and_b64 s[24:25], s[24:25], s[20:21]
	s_mul_i32 s25, s25, 24
	s_mul_hi_u32 s26, s24, 24
	s_mul_i32 s24, s24, 24
	s_add_i32 s25, s26, s25
	v_mov_b32_e32 v1, s25
	v_add_co_u32_e32 v3, vcc, s24, v25
	v_addc_co_u32_e32 v4, vcc, v26, v1, vcc
	global_store_dwordx2 v[3:4], v[13:14], off
	s_waitcnt vmcnt(0)
	global_atomic_cmpswap_x2 v[11:12], v2, v[11:14], s[2:3] offset:32 glc
	s_waitcnt vmcnt(0)
	v_cmp_ne_u64_e32 vcc, v[11:12], v[13:14]
	s_and_saveexec_b64 s[24:25], vcc
	s_cbranch_execz .LBB3_1106
; %bb.1104:                             ;   in Loop: Header=BB3_1038 Depth=2
	s_mov_b64 s[26:27], 0
.LBB3_1105:                             ;   Parent Loop BB3_5 Depth=1
                                        ;     Parent Loop BB3_1038 Depth=2
                                        ; =>    This Inner Loop Header: Depth=3
	s_sleep 1
	global_store_dwordx2 v[3:4], v[11:12], off
	v_mov_b32_e32 v9, s20
	v_mov_b32_e32 v10, s21
	s_waitcnt vmcnt(0)
	global_atomic_cmpswap_x2 v[9:10], v2, v[9:12], s[2:3] offset:32 glc
	s_waitcnt vmcnt(0)
	v_cmp_eq_u64_e32 vcc, v[9:10], v[11:12]
	v_mov_b32_e32 v12, v10
	s_or_b64 s[26:27], vcc, s[26:27]
	v_mov_b32_e32 v11, v9
	s_andn2_b64 exec, exec, s[26:27]
	s_cbranch_execnz .LBB3_1105
.LBB3_1106:                             ;   in Loop: Header=BB3_1038 Depth=2
	s_or_b64 exec, exec, s[24:25]
	global_load_dwordx2 v[3:4], v2, s[2:3] offset:16
	s_mov_b64 s[26:27], exec
	v_mbcnt_lo_u32_b32 v1, s26, 0
	v_mbcnt_hi_u32_b32 v1, s27, v1
	v_cmp_eq_u32_e32 vcc, 0, v1
	s_and_saveexec_b64 s[24:25], vcc
	s_cbranch_execz .LBB3_1108
; %bb.1107:                             ;   in Loop: Header=BB3_1038 Depth=2
	s_bcnt1_i32_b64 s26, s[26:27]
	v_mov_b32_e32 v1, s26
	s_waitcnt vmcnt(0)
	global_atomic_add_x2 v[3:4], v[1:2], off offset:8
.LBB3_1108:                             ;   in Loop: Header=BB3_1038 Depth=2
	s_or_b64 exec, exec, s[24:25]
	s_waitcnt vmcnt(0)
	global_load_dwordx2 v[9:10], v[3:4], off offset:16
	s_waitcnt vmcnt(0)
	v_cmp_eq_u64_e32 vcc, 0, v[9:10]
	s_cbranch_vccnz .LBB3_1110
; %bb.1109:                             ;   in Loop: Header=BB3_1038 Depth=2
	global_load_dword v1, v[3:4], off offset:24
	s_waitcnt vmcnt(0)
	v_readfirstlane_b32 s24, v1
	s_and_b32 m0, s24, 0xffffff
	global_store_dwordx2 v[9:10], v[1:2], off
	s_sendmsg sendmsg(MSG_INTERRUPT)
.LBB3_1110:                             ;   in Loop: Header=BB3_1038 Depth=2
	s_or_b64 exec, exec, s[22:23]
	v_add_co_u32_e32 v3, vcc, v27, v38
	v_addc_co_u32_e32 v4, vcc, 0, v28, vcc
	s_branch .LBB3_1114
.LBB3_1111:                             ;   in Loop: Header=BB3_1114 Depth=3
	s_or_b64 exec, exec, s[22:23]
	v_readfirstlane_b32 s22, v1
	s_cmp_eq_u32 s22, 0
	s_cbranch_scc1 .LBB3_1113
; %bb.1112:                             ;   in Loop: Header=BB3_1114 Depth=3
	s_sleep 1
	s_cbranch_execnz .LBB3_1114
	s_branch .LBB3_1116
.LBB3_1113:                             ;   in Loop: Header=BB3_1038 Depth=2
	s_branch .LBB3_1116
.LBB3_1114:                             ;   Parent Loop BB3_5 Depth=1
                                        ;     Parent Loop BB3_1038 Depth=2
                                        ; =>    This Inner Loop Header: Depth=3
	v_mov_b32_e32 v1, 1
	s_and_saveexec_b64 s[22:23], s[0:1]
	s_cbranch_execz .LBB3_1111
; %bb.1115:                             ;   in Loop: Header=BB3_1114 Depth=3
	global_load_dword v1, v[34:35], off offset:20 glc
	s_waitcnt vmcnt(0)
	buffer_wbinvl1_vol
	v_and_b32_e32 v1, 1, v1
	s_branch .LBB3_1111
.LBB3_1116:                             ;   in Loop: Header=BB3_1038 Depth=2
	global_load_dwordx2 v[9:10], v[3:4], off
	s_and_saveexec_b64 s[22:23], s[0:1]
	s_cbranch_execz .LBB3_1037
; %bb.1117:                             ;   in Loop: Header=BB3_1038 Depth=2
	global_load_dwordx2 v[3:4], v2, s[2:3] offset:40
	global_load_dwordx2 v[15:16], v2, s[2:3] offset:24 glc
	global_load_dwordx2 v[11:12], v2, s[2:3]
	s_waitcnt vmcnt(2)
	v_readfirstlane_b32 s24, v3
	v_readfirstlane_b32 s25, v4
	s_add_u32 s26, s24, 1
	s_addc_u32 s27, s25, 0
	s_add_u32 s0, s26, s20
	s_addc_u32 s1, s27, s21
	s_cmp_eq_u64 s[0:1], 0
	s_cselect_b32 s1, s27, s1
	s_cselect_b32 s0, s26, s0
	s_and_b64 s[20:21], s[0:1], s[24:25]
	s_mul_i32 s21, s21, 24
	s_mul_hi_u32 s24, s20, 24
	s_mul_i32 s20, s20, 24
	s_add_i32 s21, s24, s21
	v_mov_b32_e32 v1, s21
	s_waitcnt vmcnt(0)
	v_add_co_u32_e32 v3, vcc, s20, v11
	v_addc_co_u32_e32 v4, vcc, v12, v1, vcc
	v_mov_b32_e32 v13, s0
	global_store_dwordx2 v[3:4], v[15:16], off
	v_mov_b32_e32 v14, s1
	s_waitcnt vmcnt(0)
	global_atomic_cmpswap_x2 v[13:14], v2, v[13:16], s[2:3] offset:24 glc
	s_waitcnt vmcnt(0)
	v_cmp_ne_u64_e32 vcc, v[13:14], v[15:16]
	s_and_b64 exec, exec, vcc
	s_cbranch_execz .LBB3_1037
; %bb.1118:                             ;   in Loop: Header=BB3_1038 Depth=2
	s_mov_b64 s[20:21], 0
.LBB3_1119:                             ;   Parent Loop BB3_5 Depth=1
                                        ;     Parent Loop BB3_1038 Depth=2
                                        ; =>    This Inner Loop Header: Depth=3
	s_sleep 1
	global_store_dwordx2 v[3:4], v[13:14], off
	v_mov_b32_e32 v11, s0
	v_mov_b32_e32 v12, s1
	s_waitcnt vmcnt(0)
	global_atomic_cmpswap_x2 v[11:12], v2, v[11:14], s[2:3] offset:24 glc
	s_waitcnt vmcnt(0)
	v_cmp_eq_u64_e32 vcc, v[11:12], v[13:14]
	v_mov_b32_e32 v14, v12
	s_or_b64 s[20:21], vcc, s[20:21]
	v_mov_b32_e32 v13, v11
	s_andn2_b64 exec, exec, s[20:21]
	s_cbranch_execnz .LBB3_1119
	s_branch .LBB3_1037
.LBB3_1120:                             ;   in Loop: Header=BB3_5 Depth=1
	s_branch .LBB3_1177
.LBB3_1121:                             ;   in Loop: Header=BB3_5 Depth=1
                                        ; implicit-def: $vgpr7_vgpr8
	s_cbranch_execz .LBB3_1035
; %bb.1122:                             ;   in Loop: Header=BB3_5 Depth=1
	v_readfirstlane_b32 s0, v36
	v_mov_b32_e32 v3, 0
	v_mov_b32_e32 v4, 0
	v_cmp_eq_u32_e64 s[0:1], s0, v36
	s_and_saveexec_b64 s[14:15], s[0:1]
	s_cbranch_execz .LBB3_1128
; %bb.1123:                             ;   in Loop: Header=BB3_5 Depth=1
	global_load_dwordx2 v[9:10], v2, s[2:3] offset:24 glc
	s_waitcnt vmcnt(0)
	buffer_wbinvl1_vol
	global_load_dwordx2 v[3:4], v2, s[2:3] offset:40
	global_load_dwordx2 v[7:8], v2, s[2:3]
	s_waitcnt vmcnt(1)
	v_and_b32_e32 v1, v3, v9
	v_and_b32_e32 v3, v4, v10
	v_mul_lo_u32 v3, v3, 24
	v_mul_hi_u32 v4, v1, 24
	v_mul_lo_u32 v1, v1, 24
	v_add_u32_e32 v4, v4, v3
	s_waitcnt vmcnt(0)
	v_add_co_u32_e32 v3, vcc, v7, v1
	v_addc_co_u32_e32 v4, vcc, v8, v4, vcc
	global_load_dwordx2 v[7:8], v[3:4], off glc
	s_waitcnt vmcnt(0)
	global_atomic_cmpswap_x2 v[3:4], v2, v[7:10], s[2:3] offset:24 glc
	s_waitcnt vmcnt(0)
	buffer_wbinvl1_vol
	v_cmp_ne_u64_e32 vcc, v[3:4], v[9:10]
	s_and_saveexec_b64 s[16:17], vcc
	s_cbranch_execz .LBB3_1127
; %bb.1124:                             ;   in Loop: Header=BB3_5 Depth=1
	s_mov_b64 s[18:19], 0
.LBB3_1125:                             ;   Parent Loop BB3_5 Depth=1
                                        ; =>  This Inner Loop Header: Depth=2
	s_sleep 1
	global_load_dwordx2 v[7:8], v2, s[2:3] offset:40
	global_load_dwordx2 v[13:14], v2, s[2:3]
	v_mov_b32_e32 v10, v4
	v_mov_b32_e32 v9, v3
	s_waitcnt vmcnt(1)
	v_and_b32_e32 v1, v7, v9
	s_waitcnt vmcnt(0)
	v_mad_u64_u32 v[3:4], s[20:21], v1, 24, v[13:14]
	v_and_b32_e32 v7, v8, v10
	v_mov_b32_e32 v1, v4
	v_mad_u64_u32 v[7:8], s[20:21], v7, 24, v[1:2]
	v_mov_b32_e32 v4, v7
	global_load_dwordx2 v[7:8], v[3:4], off glc
	s_waitcnt vmcnt(0)
	global_atomic_cmpswap_x2 v[3:4], v2, v[7:10], s[2:3] offset:24 glc
	s_waitcnt vmcnt(0)
	buffer_wbinvl1_vol
	v_cmp_eq_u64_e32 vcc, v[3:4], v[9:10]
	s_or_b64 s[18:19], vcc, s[18:19]
	s_andn2_b64 exec, exec, s[18:19]
	s_cbranch_execnz .LBB3_1125
; %bb.1126:                             ;   in Loop: Header=BB3_5 Depth=1
	s_or_b64 exec, exec, s[18:19]
.LBB3_1127:                             ;   in Loop: Header=BB3_5 Depth=1
	s_or_b64 exec, exec, s[16:17]
.LBB3_1128:                             ;   in Loop: Header=BB3_5 Depth=1
	s_or_b64 exec, exec, s[14:15]
	global_load_dwordx2 v[13:14], v2, s[2:3] offset:40
	global_load_dwordx4 v[7:10], v2, s[2:3]
	v_readfirstlane_b32 s15, v4
	v_readfirstlane_b32 s14, v3
	s_mov_b64 s[16:17], exec
	s_waitcnt vmcnt(1)
	v_readfirstlane_b32 s18, v13
	v_readfirstlane_b32 s19, v14
	s_and_b64 s[18:19], s[18:19], s[14:15]
	s_mul_i32 s20, s19, 24
	s_mul_hi_u32 s21, s18, 24
	s_mul_i32 s22, s18, 24
	s_add_i32 s20, s21, s20
	v_mov_b32_e32 v1, s20
	s_waitcnt vmcnt(0)
	v_add_co_u32_e32 v15, vcc, s22, v7
	v_addc_co_u32_e32 v16, vcc, v8, v1, vcc
	s_and_saveexec_b64 s[20:21], s[0:1]
	s_cbranch_execz .LBB3_1130
; %bb.1129:                             ;   in Loop: Header=BB3_5 Depth=1
	v_mov_b32_e32 v3, s16
	v_mov_b32_e32 v4, s17
	global_store_dwordx4 v[15:16], v[3:6], off offset:8
.LBB3_1130:                             ;   in Loop: Header=BB3_5 Depth=1
	s_or_b64 exec, exec, s[20:21]
	s_lshl_b64 s[16:17], s[18:19], 12
	v_mov_b32_e32 v1, s17
	v_add_co_u32_e32 v17, vcc, s16, v9
	v_addc_co_u32_e32 v18, vcc, v10, v1, vcc
	v_and_or_b32 v11, v11, s29, 32
	v_mov_b32_e32 v13, v2
	v_mov_b32_e32 v14, v2
	v_readfirstlane_b32 s16, v17
	v_readfirstlane_b32 s17, v18
	s_nop 4
	global_store_dwordx4 v38, v[11:14], s[16:17]
	s_nop 0
	v_mov_b32_e32 v12, s11
	v_mov_b32_e32 v11, s10
	v_mov_b32_e32 v10, s9
	v_mov_b32_e32 v9, s8
	global_store_dwordx4 v38, v[9:12], s[16:17] offset:16
	global_store_dwordx4 v38, v[9:12], s[16:17] offset:32
	;; [unrolled: 1-line block ×3, first 2 shown]
	s_and_saveexec_b64 s[16:17], s[0:1]
	s_cbranch_execz .LBB3_1138
; %bb.1131:                             ;   in Loop: Header=BB3_5 Depth=1
	global_load_dwordx2 v[11:12], v2, s[2:3] offset:32 glc
	global_load_dwordx2 v[3:4], v2, s[2:3] offset:40
	v_mov_b32_e32 v9, s14
	v_mov_b32_e32 v10, s15
	s_waitcnt vmcnt(0)
	v_readfirstlane_b32 s18, v3
	v_readfirstlane_b32 s19, v4
	s_and_b64 s[18:19], s[18:19], s[14:15]
	s_mul_i32 s19, s19, 24
	s_mul_hi_u32 s20, s18, 24
	s_mul_i32 s18, s18, 24
	s_add_i32 s19, s20, s19
	v_mov_b32_e32 v1, s19
	v_add_co_u32_e32 v3, vcc, s18, v7
	v_addc_co_u32_e32 v4, vcc, v8, v1, vcc
	global_store_dwordx2 v[3:4], v[11:12], off
	s_waitcnt vmcnt(0)
	global_atomic_cmpswap_x2 v[9:10], v2, v[9:12], s[2:3] offset:32 glc
	s_waitcnt vmcnt(0)
	v_cmp_ne_u64_e32 vcc, v[9:10], v[11:12]
	s_and_saveexec_b64 s[18:19], vcc
	s_cbranch_execz .LBB3_1134
; %bb.1132:                             ;   in Loop: Header=BB3_5 Depth=1
	s_mov_b64 s[20:21], 0
.LBB3_1133:                             ;   Parent Loop BB3_5 Depth=1
                                        ; =>  This Inner Loop Header: Depth=2
	s_sleep 1
	global_store_dwordx2 v[3:4], v[9:10], off
	v_mov_b32_e32 v7, s14
	v_mov_b32_e32 v8, s15
	s_waitcnt vmcnt(0)
	global_atomic_cmpswap_x2 v[7:8], v2, v[7:10], s[2:3] offset:32 glc
	s_waitcnt vmcnt(0)
	v_cmp_eq_u64_e32 vcc, v[7:8], v[9:10]
	v_mov_b32_e32 v10, v8
	s_or_b64 s[20:21], vcc, s[20:21]
	v_mov_b32_e32 v9, v7
	s_andn2_b64 exec, exec, s[20:21]
	s_cbranch_execnz .LBB3_1133
.LBB3_1134:                             ;   in Loop: Header=BB3_5 Depth=1
	s_or_b64 exec, exec, s[18:19]
	global_load_dwordx2 v[3:4], v2, s[2:3] offset:16
	s_mov_b64 s[20:21], exec
	v_mbcnt_lo_u32_b32 v1, s20, 0
	v_mbcnt_hi_u32_b32 v1, s21, v1
	v_cmp_eq_u32_e32 vcc, 0, v1
	s_and_saveexec_b64 s[18:19], vcc
	s_cbranch_execz .LBB3_1136
; %bb.1135:                             ;   in Loop: Header=BB3_5 Depth=1
	s_bcnt1_i32_b64 s20, s[20:21]
	v_mov_b32_e32 v1, s20
	s_waitcnt vmcnt(0)
	global_atomic_add_x2 v[3:4], v[1:2], off offset:8
.LBB3_1136:                             ;   in Loop: Header=BB3_5 Depth=1
	s_or_b64 exec, exec, s[18:19]
	s_waitcnt vmcnt(0)
	global_load_dwordx2 v[7:8], v[3:4], off offset:16
	s_waitcnt vmcnt(0)
	v_cmp_eq_u64_e32 vcc, 0, v[7:8]
	s_cbranch_vccnz .LBB3_1138
; %bb.1137:                             ;   in Loop: Header=BB3_5 Depth=1
	global_load_dword v1, v[3:4], off offset:24
	s_waitcnt vmcnt(0)
	v_readfirstlane_b32 s18, v1
	s_and_b32 m0, s18, 0xffffff
	global_store_dwordx2 v[7:8], v[1:2], off
	s_sendmsg sendmsg(MSG_INTERRUPT)
.LBB3_1138:                             ;   in Loop: Header=BB3_5 Depth=1
	s_or_b64 exec, exec, s[16:17]
	v_add_co_u32_e32 v3, vcc, v17, v38
	v_addc_co_u32_e32 v4, vcc, 0, v18, vcc
	s_branch .LBB3_1142
.LBB3_1139:                             ;   in Loop: Header=BB3_1142 Depth=2
	s_or_b64 exec, exec, s[16:17]
	v_readfirstlane_b32 s16, v1
	s_cmp_eq_u32 s16, 0
	s_cbranch_scc1 .LBB3_1141
; %bb.1140:                             ;   in Loop: Header=BB3_1142 Depth=2
	s_sleep 1
	s_cbranch_execnz .LBB3_1142
	s_branch .LBB3_1144
.LBB3_1141:                             ;   in Loop: Header=BB3_5 Depth=1
	s_branch .LBB3_1144
.LBB3_1142:                             ;   Parent Loop BB3_5 Depth=1
                                        ; =>  This Inner Loop Header: Depth=2
	v_mov_b32_e32 v1, 1
	s_and_saveexec_b64 s[16:17], s[0:1]
	s_cbranch_execz .LBB3_1139
; %bb.1143:                             ;   in Loop: Header=BB3_1142 Depth=2
	global_load_dword v1, v[15:16], off offset:20 glc
	s_waitcnt vmcnt(0)
	buffer_wbinvl1_vol
	v_and_b32_e32 v1, 1, v1
	s_branch .LBB3_1139
.LBB3_1144:                             ;   in Loop: Header=BB3_5 Depth=1
	global_load_dwordx2 v[7:8], v[3:4], off
	s_and_saveexec_b64 s[16:17], s[0:1]
	s_cbranch_execz .LBB3_1148
; %bb.1145:                             ;   in Loop: Header=BB3_5 Depth=1
	global_load_dwordx2 v[3:4], v2, s[2:3] offset:40
	global_load_dwordx2 v[13:14], v2, s[2:3] offset:24 glc
	global_load_dwordx2 v[9:10], v2, s[2:3]
	s_waitcnt vmcnt(2)
	v_readfirstlane_b32 s18, v3
	v_readfirstlane_b32 s19, v4
	s_add_u32 s20, s18, 1
	s_addc_u32 s21, s19, 0
	s_add_u32 s0, s20, s14
	s_addc_u32 s1, s21, s15
	s_cmp_eq_u64 s[0:1], 0
	s_cselect_b32 s1, s21, s1
	s_cselect_b32 s0, s20, s0
	s_and_b64 s[14:15], s[0:1], s[18:19]
	s_mul_i32 s15, s15, 24
	s_mul_hi_u32 s18, s14, 24
	s_mul_i32 s14, s14, 24
	s_add_i32 s15, s18, s15
	v_mov_b32_e32 v1, s15
	s_waitcnt vmcnt(0)
	v_add_co_u32_e32 v3, vcc, s14, v9
	v_addc_co_u32_e32 v4, vcc, v10, v1, vcc
	v_mov_b32_e32 v11, s0
	global_store_dwordx2 v[3:4], v[13:14], off
	v_mov_b32_e32 v12, s1
	s_waitcnt vmcnt(0)
	global_atomic_cmpswap_x2 v[11:12], v2, v[11:14], s[2:3] offset:24 glc
	s_waitcnt vmcnt(0)
	v_cmp_ne_u64_e32 vcc, v[11:12], v[13:14]
	s_and_b64 exec, exec, vcc
	s_cbranch_execz .LBB3_1148
; %bb.1146:                             ;   in Loop: Header=BB3_5 Depth=1
	s_mov_b64 s[14:15], 0
.LBB3_1147:                             ;   Parent Loop BB3_5 Depth=1
                                        ; =>  This Inner Loop Header: Depth=2
	s_sleep 1
	global_store_dwordx2 v[3:4], v[11:12], off
	v_mov_b32_e32 v9, s0
	v_mov_b32_e32 v10, s1
	s_waitcnt vmcnt(0)
	global_atomic_cmpswap_x2 v[9:10], v2, v[9:12], s[2:3] offset:24 glc
	s_waitcnt vmcnt(0)
	v_cmp_eq_u64_e32 vcc, v[9:10], v[11:12]
	v_mov_b32_e32 v12, v10
	s_or_b64 s[14:15], vcc, s[14:15]
	v_mov_b32_e32 v11, v9
	s_andn2_b64 exec, exec, s[14:15]
	s_cbranch_execnz .LBB3_1147
.LBB3_1148:                             ;   in Loop: Header=BB3_5 Depth=1
	s_or_b64 exec, exec, s[16:17]
	s_and_b64 vcc, exec, s[12:13]
	s_cbranch_vccnz .LBB3_1036
.LBB3_1149:                             ;   in Loop: Header=BB3_5 Depth=1
                                        ; implicit-def: $vgpr9_vgpr10
	s_cbranch_execz .LBB3_1177
; %bb.1150:                             ;   in Loop: Header=BB3_5 Depth=1
	v_readfirstlane_b32 s0, v36
	v_mov_b32_e32 v3, 0
	v_mov_b32_e32 v4, 0
	v_cmp_eq_u32_e64 s[0:1], s0, v36
	s_and_saveexec_b64 s[14:15], s[0:1]
	s_cbranch_execz .LBB3_1156
; %bb.1151:                             ;   in Loop: Header=BB3_5 Depth=1
	global_load_dwordx2 v[11:12], v2, s[2:3] offset:24 glc
	s_waitcnt vmcnt(0)
	buffer_wbinvl1_vol
	global_load_dwordx2 v[3:4], v2, s[2:3] offset:40
	global_load_dwordx2 v[9:10], v2, s[2:3]
	s_waitcnt vmcnt(1)
	v_and_b32_e32 v1, v3, v11
	v_and_b32_e32 v3, v4, v12
	v_mul_lo_u32 v3, v3, 24
	v_mul_hi_u32 v4, v1, 24
	v_mul_lo_u32 v1, v1, 24
	v_add_u32_e32 v4, v4, v3
	s_waitcnt vmcnt(0)
	v_add_co_u32_e32 v3, vcc, v9, v1
	v_addc_co_u32_e32 v4, vcc, v10, v4, vcc
	global_load_dwordx2 v[9:10], v[3:4], off glc
	s_waitcnt vmcnt(0)
	global_atomic_cmpswap_x2 v[3:4], v2, v[9:12], s[2:3] offset:24 glc
	s_waitcnt vmcnt(0)
	buffer_wbinvl1_vol
	v_cmp_ne_u64_e32 vcc, v[3:4], v[11:12]
	s_and_saveexec_b64 s[16:17], vcc
	s_cbranch_execz .LBB3_1155
; %bb.1152:                             ;   in Loop: Header=BB3_5 Depth=1
	s_mov_b64 s[18:19], 0
.LBB3_1153:                             ;   Parent Loop BB3_5 Depth=1
                                        ; =>  This Inner Loop Header: Depth=2
	s_sleep 1
	global_load_dwordx2 v[9:10], v2, s[2:3] offset:40
	global_load_dwordx2 v[13:14], v2, s[2:3]
	v_mov_b32_e32 v12, v4
	v_mov_b32_e32 v11, v3
	s_waitcnt vmcnt(1)
	v_and_b32_e32 v1, v9, v11
	s_waitcnt vmcnt(0)
	v_mad_u64_u32 v[3:4], s[20:21], v1, 24, v[13:14]
	v_and_b32_e32 v9, v10, v12
	v_mov_b32_e32 v1, v4
	v_mad_u64_u32 v[9:10], s[20:21], v9, 24, v[1:2]
	v_mov_b32_e32 v4, v9
	global_load_dwordx2 v[9:10], v[3:4], off glc
	s_waitcnt vmcnt(0)
	global_atomic_cmpswap_x2 v[3:4], v2, v[9:12], s[2:3] offset:24 glc
	s_waitcnt vmcnt(0)
	buffer_wbinvl1_vol
	v_cmp_eq_u64_e32 vcc, v[3:4], v[11:12]
	s_or_b64 s[18:19], vcc, s[18:19]
	s_andn2_b64 exec, exec, s[18:19]
	s_cbranch_execnz .LBB3_1153
; %bb.1154:                             ;   in Loop: Header=BB3_5 Depth=1
	s_or_b64 exec, exec, s[18:19]
.LBB3_1155:                             ;   in Loop: Header=BB3_5 Depth=1
	s_or_b64 exec, exec, s[16:17]
.LBB3_1156:                             ;   in Loop: Header=BB3_5 Depth=1
	s_or_b64 exec, exec, s[14:15]
	global_load_dwordx2 v[9:10], v2, s[2:3] offset:40
	global_load_dwordx4 v[11:14], v2, s[2:3]
	v_readfirstlane_b32 s15, v4
	v_readfirstlane_b32 s14, v3
	s_mov_b64 s[16:17], exec
	s_waitcnt vmcnt(1)
	v_readfirstlane_b32 s18, v9
	v_readfirstlane_b32 s19, v10
	s_and_b64 s[18:19], s[18:19], s[14:15]
	s_mul_i32 s20, s19, 24
	s_mul_hi_u32 s21, s18, 24
	s_mul_i32 s22, s18, 24
	s_add_i32 s20, s21, s20
	v_mov_b32_e32 v1, s20
	s_waitcnt vmcnt(0)
	v_add_co_u32_e32 v15, vcc, s22, v11
	v_addc_co_u32_e32 v16, vcc, v12, v1, vcc
	s_and_saveexec_b64 s[20:21], s[0:1]
	s_cbranch_execz .LBB3_1158
; %bb.1157:                             ;   in Loop: Header=BB3_5 Depth=1
	v_mov_b32_e32 v3, s16
	v_mov_b32_e32 v4, s17
	global_store_dwordx4 v[15:16], v[3:6], off offset:8
.LBB3_1158:                             ;   in Loop: Header=BB3_5 Depth=1
	s_or_b64 exec, exec, s[20:21]
	s_lshl_b64 s[16:17], s[18:19], 12
	v_mov_b32_e32 v1, s17
	v_add_co_u32_e32 v13, vcc, s16, v13
	v_addc_co_u32_e32 v14, vcc, v14, v1, vcc
	v_and_or_b32 v7, v7, s29, 32
	v_mov_b32_e32 v9, v2
	v_mov_b32_e32 v10, v2
	v_readfirstlane_b32 s16, v13
	v_readfirstlane_b32 s17, v14
	s_nop 4
	global_store_dwordx4 v38, v[7:10], s[16:17]
	s_nop 0
	v_mov_b32_e32 v7, s8
	v_mov_b32_e32 v8, s9
	;; [unrolled: 1-line block ×4, first 2 shown]
	global_store_dwordx4 v38, v[7:10], s[16:17] offset:16
	global_store_dwordx4 v38, v[7:10], s[16:17] offset:32
	;; [unrolled: 1-line block ×3, first 2 shown]
	s_and_saveexec_b64 s[16:17], s[0:1]
	s_cbranch_execz .LBB3_1166
; %bb.1159:                             ;   in Loop: Header=BB3_5 Depth=1
	global_load_dwordx2 v[19:20], v2, s[2:3] offset:32 glc
	global_load_dwordx2 v[3:4], v2, s[2:3] offset:40
	v_mov_b32_e32 v17, s14
	v_mov_b32_e32 v18, s15
	s_waitcnt vmcnt(0)
	v_readfirstlane_b32 s18, v3
	v_readfirstlane_b32 s19, v4
	s_and_b64 s[18:19], s[18:19], s[14:15]
	s_mul_i32 s19, s19, 24
	s_mul_hi_u32 s20, s18, 24
	s_mul_i32 s18, s18, 24
	s_add_i32 s19, s20, s19
	v_mov_b32_e32 v1, s19
	v_add_co_u32_e32 v3, vcc, s18, v11
	v_addc_co_u32_e32 v4, vcc, v12, v1, vcc
	global_store_dwordx2 v[3:4], v[19:20], off
	s_waitcnt vmcnt(0)
	global_atomic_cmpswap_x2 v[9:10], v2, v[17:20], s[2:3] offset:32 glc
	s_waitcnt vmcnt(0)
	v_cmp_ne_u64_e32 vcc, v[9:10], v[19:20]
	s_and_saveexec_b64 s[18:19], vcc
	s_cbranch_execz .LBB3_1162
; %bb.1160:                             ;   in Loop: Header=BB3_5 Depth=1
	s_mov_b64 s[20:21], 0
.LBB3_1161:                             ;   Parent Loop BB3_5 Depth=1
                                        ; =>  This Inner Loop Header: Depth=2
	s_sleep 1
	global_store_dwordx2 v[3:4], v[9:10], off
	v_mov_b32_e32 v7, s14
	v_mov_b32_e32 v8, s15
	s_waitcnt vmcnt(0)
	global_atomic_cmpswap_x2 v[7:8], v2, v[7:10], s[2:3] offset:32 glc
	s_waitcnt vmcnt(0)
	v_cmp_eq_u64_e32 vcc, v[7:8], v[9:10]
	v_mov_b32_e32 v10, v8
	s_or_b64 s[20:21], vcc, s[20:21]
	v_mov_b32_e32 v9, v7
	s_andn2_b64 exec, exec, s[20:21]
	s_cbranch_execnz .LBB3_1161
.LBB3_1162:                             ;   in Loop: Header=BB3_5 Depth=1
	s_or_b64 exec, exec, s[18:19]
	global_load_dwordx2 v[3:4], v2, s[2:3] offset:16
	s_mov_b64 s[20:21], exec
	v_mbcnt_lo_u32_b32 v1, s20, 0
	v_mbcnt_hi_u32_b32 v1, s21, v1
	v_cmp_eq_u32_e32 vcc, 0, v1
	s_and_saveexec_b64 s[18:19], vcc
	s_cbranch_execz .LBB3_1164
; %bb.1163:                             ;   in Loop: Header=BB3_5 Depth=1
	s_bcnt1_i32_b64 s20, s[20:21]
	v_mov_b32_e32 v1, s20
	s_waitcnt vmcnt(0)
	global_atomic_add_x2 v[3:4], v[1:2], off offset:8
.LBB3_1164:                             ;   in Loop: Header=BB3_5 Depth=1
	s_or_b64 exec, exec, s[18:19]
	s_waitcnt vmcnt(0)
	global_load_dwordx2 v[7:8], v[3:4], off offset:16
	s_waitcnt vmcnt(0)
	v_cmp_eq_u64_e32 vcc, 0, v[7:8]
	s_cbranch_vccnz .LBB3_1166
; %bb.1165:                             ;   in Loop: Header=BB3_5 Depth=1
	global_load_dword v1, v[3:4], off offset:24
	s_waitcnt vmcnt(0)
	v_readfirstlane_b32 s18, v1
	s_and_b32 m0, s18, 0xffffff
	global_store_dwordx2 v[7:8], v[1:2], off
	s_sendmsg sendmsg(MSG_INTERRUPT)
.LBB3_1166:                             ;   in Loop: Header=BB3_5 Depth=1
	s_or_b64 exec, exec, s[16:17]
	v_add_co_u32_e32 v3, vcc, v13, v38
	v_addc_co_u32_e32 v4, vcc, 0, v14, vcc
	s_branch .LBB3_1170
.LBB3_1167:                             ;   in Loop: Header=BB3_1170 Depth=2
	s_or_b64 exec, exec, s[16:17]
	v_readfirstlane_b32 s16, v1
	s_cmp_eq_u32 s16, 0
	s_cbranch_scc1 .LBB3_1169
; %bb.1168:                             ;   in Loop: Header=BB3_1170 Depth=2
	s_sleep 1
	s_cbranch_execnz .LBB3_1170
	s_branch .LBB3_1172
.LBB3_1169:                             ;   in Loop: Header=BB3_5 Depth=1
	s_branch .LBB3_1172
.LBB3_1170:                             ;   Parent Loop BB3_5 Depth=1
                                        ; =>  This Inner Loop Header: Depth=2
	v_mov_b32_e32 v1, 1
	s_and_saveexec_b64 s[16:17], s[0:1]
	s_cbranch_execz .LBB3_1167
; %bb.1171:                             ;   in Loop: Header=BB3_1170 Depth=2
	global_load_dword v1, v[15:16], off offset:20 glc
	s_waitcnt vmcnt(0)
	buffer_wbinvl1_vol
	v_and_b32_e32 v1, 1, v1
	s_branch .LBB3_1167
.LBB3_1172:                             ;   in Loop: Header=BB3_5 Depth=1
	global_load_dwordx2 v[9:10], v[3:4], off
	s_and_saveexec_b64 s[16:17], s[0:1]
	s_cbranch_execz .LBB3_1176
; %bb.1173:                             ;   in Loop: Header=BB3_5 Depth=1
	global_load_dwordx2 v[3:4], v2, s[2:3] offset:40
	global_load_dwordx2 v[15:16], v2, s[2:3] offset:24 glc
	global_load_dwordx2 v[7:8], v2, s[2:3]
	s_waitcnt vmcnt(2)
	v_readfirstlane_b32 s18, v3
	v_readfirstlane_b32 s19, v4
	s_add_u32 s20, s18, 1
	s_addc_u32 s21, s19, 0
	s_add_u32 s0, s20, s14
	s_addc_u32 s1, s21, s15
	s_cmp_eq_u64 s[0:1], 0
	s_cselect_b32 s1, s21, s1
	s_cselect_b32 s0, s20, s0
	s_and_b64 s[14:15], s[0:1], s[18:19]
	s_mul_i32 s15, s15, 24
	s_mul_hi_u32 s18, s14, 24
	s_mul_i32 s14, s14, 24
	s_add_i32 s15, s18, s15
	v_mov_b32_e32 v1, s15
	s_waitcnt vmcnt(0)
	v_add_co_u32_e32 v3, vcc, s14, v7
	v_addc_co_u32_e32 v4, vcc, v8, v1, vcc
	v_mov_b32_e32 v13, s0
	global_store_dwordx2 v[3:4], v[15:16], off
	v_mov_b32_e32 v14, s1
	s_waitcnt vmcnt(0)
	global_atomic_cmpswap_x2 v[13:14], v2, v[13:16], s[2:3] offset:24 glc
	s_waitcnt vmcnt(0)
	v_cmp_ne_u64_e32 vcc, v[13:14], v[15:16]
	s_and_b64 exec, exec, vcc
	s_cbranch_execz .LBB3_1176
; %bb.1174:                             ;   in Loop: Header=BB3_5 Depth=1
	s_mov_b64 s[14:15], 0
.LBB3_1175:                             ;   Parent Loop BB3_5 Depth=1
                                        ; =>  This Inner Loop Header: Depth=2
	s_sleep 1
	global_store_dwordx2 v[3:4], v[13:14], off
	v_mov_b32_e32 v11, s0
	v_mov_b32_e32 v12, s1
	s_waitcnt vmcnt(0)
	global_atomic_cmpswap_x2 v[7:8], v2, v[11:14], s[2:3] offset:24 glc
	s_waitcnt vmcnt(0)
	v_cmp_eq_u64_e32 vcc, v[7:8], v[13:14]
	v_mov_b32_e32 v14, v8
	s_or_b64 s[14:15], vcc, s[14:15]
	v_mov_b32_e32 v13, v7
	s_andn2_b64 exec, exec, s[14:15]
	s_cbranch_execnz .LBB3_1175
.LBB3_1176:                             ;   in Loop: Header=BB3_5 Depth=1
	s_or_b64 exec, exec, s[16:17]
.LBB3_1177:                             ;   in Loop: Header=BB3_5 Depth=1
	v_readfirstlane_b32 s0, v36
	v_mov_b32_e32 v3, 0
	v_mov_b32_e32 v4, 0
	v_cmp_eq_u32_e64 s[0:1], s0, v36
	s_and_saveexec_b64 s[14:15], s[0:1]
	s_cbranch_execz .LBB3_1183
; %bb.1178:                             ;   in Loop: Header=BB3_5 Depth=1
	global_load_dwordx2 v[13:14], v2, s[2:3] offset:24 glc
	s_waitcnt vmcnt(0)
	buffer_wbinvl1_vol
	global_load_dwordx2 v[3:4], v2, s[2:3] offset:40
	global_load_dwordx2 v[7:8], v2, s[2:3]
	s_waitcnt vmcnt(1)
	v_and_b32_e32 v1, v3, v13
	v_and_b32_e32 v3, v4, v14
	v_mul_lo_u32 v3, v3, 24
	v_mul_hi_u32 v4, v1, 24
	v_mul_lo_u32 v1, v1, 24
	v_add_u32_e32 v4, v4, v3
	s_waitcnt vmcnt(0)
	v_add_co_u32_e32 v3, vcc, v7, v1
	v_addc_co_u32_e32 v4, vcc, v8, v4, vcc
	global_load_dwordx2 v[11:12], v[3:4], off glc
	s_waitcnt vmcnt(0)
	global_atomic_cmpswap_x2 v[3:4], v2, v[11:14], s[2:3] offset:24 glc
	s_waitcnt vmcnt(0)
	buffer_wbinvl1_vol
	v_cmp_ne_u64_e32 vcc, v[3:4], v[13:14]
	s_and_saveexec_b64 s[16:17], vcc
	s_cbranch_execz .LBB3_1182
; %bb.1179:                             ;   in Loop: Header=BB3_5 Depth=1
	s_mov_b64 s[18:19], 0
.LBB3_1180:                             ;   Parent Loop BB3_5 Depth=1
                                        ; =>  This Inner Loop Header: Depth=2
	s_sleep 1
	global_load_dwordx2 v[7:8], v2, s[2:3] offset:40
	global_load_dwordx2 v[11:12], v2, s[2:3]
	v_mov_b32_e32 v14, v4
	v_mov_b32_e32 v13, v3
	s_waitcnt vmcnt(1)
	v_and_b32_e32 v1, v7, v13
	s_waitcnt vmcnt(0)
	v_mad_u64_u32 v[3:4], s[20:21], v1, 24, v[11:12]
	v_and_b32_e32 v7, v8, v14
	v_mov_b32_e32 v1, v4
	v_mad_u64_u32 v[7:8], s[20:21], v7, 24, v[1:2]
	v_mov_b32_e32 v4, v7
	global_load_dwordx2 v[11:12], v[3:4], off glc
	s_waitcnt vmcnt(0)
	global_atomic_cmpswap_x2 v[3:4], v2, v[11:14], s[2:3] offset:24 glc
	s_waitcnt vmcnt(0)
	buffer_wbinvl1_vol
	v_cmp_eq_u64_e32 vcc, v[3:4], v[13:14]
	s_or_b64 s[18:19], vcc, s[18:19]
	s_andn2_b64 exec, exec, s[18:19]
	s_cbranch_execnz .LBB3_1180
; %bb.1181:                             ;   in Loop: Header=BB3_5 Depth=1
	s_or_b64 exec, exec, s[18:19]
.LBB3_1182:                             ;   in Loop: Header=BB3_5 Depth=1
	s_or_b64 exec, exec, s[16:17]
.LBB3_1183:                             ;   in Loop: Header=BB3_5 Depth=1
	s_or_b64 exec, exec, s[14:15]
	global_load_dwordx2 v[7:8], v2, s[2:3] offset:40
	global_load_dwordx4 v[13:16], v2, s[2:3]
	v_readfirstlane_b32 s15, v4
	v_readfirstlane_b32 s14, v3
	s_mov_b64 s[16:17], exec
	s_waitcnt vmcnt(1)
	v_readfirstlane_b32 s18, v7
	v_readfirstlane_b32 s19, v8
	s_and_b64 s[18:19], s[18:19], s[14:15]
	s_mul_i32 s20, s19, 24
	s_mul_hi_u32 s21, s18, 24
	s_mul_i32 s22, s18, 24
	s_add_i32 s20, s21, s20
	v_mov_b32_e32 v1, s20
	s_waitcnt vmcnt(0)
	v_add_co_u32_e32 v17, vcc, s22, v13
	v_addc_co_u32_e32 v18, vcc, v14, v1, vcc
	s_and_saveexec_b64 s[20:21], s[0:1]
	s_cbranch_execz .LBB3_1185
; %bb.1184:                             ;   in Loop: Header=BB3_5 Depth=1
	v_mov_b32_e32 v3, s16
	v_mov_b32_e32 v4, s17
	global_store_dwordx4 v[17:18], v[3:6], off offset:8
.LBB3_1185:                             ;   in Loop: Header=BB3_5 Depth=1
	s_or_b64 exec, exec, s[20:21]
	s_lshl_b64 s[16:17], s[18:19], 12
	v_mov_b32_e32 v1, s17
	v_add_co_u32_e32 v15, vcc, s16, v15
	v_addc_co_u32_e32 v16, vcc, v16, v1, vcc
	v_and_or_b32 v9, v9, s29, 32
	v_mov_b32_e32 v11, v29
	v_mov_b32_e32 v12, v30
	v_readfirstlane_b32 s16, v15
	v_readfirstlane_b32 s17, v16
	s_nop 4
	global_store_dwordx4 v38, v[9:12], s[16:17]
	v_mov_b32_e32 v7, s8
	v_mov_b32_e32 v8, s9
	;; [unrolled: 1-line block ×4, first 2 shown]
	global_store_dwordx4 v38, v[7:10], s[16:17] offset:16
	global_store_dwordx4 v38, v[7:10], s[16:17] offset:32
	;; [unrolled: 1-line block ×3, first 2 shown]
	s_and_saveexec_b64 s[16:17], s[0:1]
	s_cbranch_execz .LBB3_1193
; %bb.1186:                             ;   in Loop: Header=BB3_5 Depth=1
	global_load_dwordx2 v[11:12], v2, s[2:3] offset:32 glc
	global_load_dwordx2 v[3:4], v2, s[2:3] offset:40
	v_mov_b32_e32 v9, s14
	v_mov_b32_e32 v10, s15
	s_waitcnt vmcnt(0)
	v_readfirstlane_b32 s18, v3
	v_readfirstlane_b32 s19, v4
	s_and_b64 s[18:19], s[18:19], s[14:15]
	s_mul_i32 s19, s19, 24
	s_mul_hi_u32 s20, s18, 24
	s_mul_i32 s18, s18, 24
	s_add_i32 s19, s20, s19
	v_mov_b32_e32 v1, s19
	v_add_co_u32_e32 v3, vcc, s18, v13
	v_addc_co_u32_e32 v4, vcc, v14, v1, vcc
	global_store_dwordx2 v[3:4], v[11:12], off
	s_waitcnt vmcnt(0)
	global_atomic_cmpswap_x2 v[9:10], v2, v[9:12], s[2:3] offset:32 glc
	s_waitcnt vmcnt(0)
	v_cmp_ne_u64_e32 vcc, v[9:10], v[11:12]
	s_and_saveexec_b64 s[18:19], vcc
	s_cbranch_execz .LBB3_1189
; %bb.1187:                             ;   in Loop: Header=BB3_5 Depth=1
	s_mov_b64 s[20:21], 0
.LBB3_1188:                             ;   Parent Loop BB3_5 Depth=1
                                        ; =>  This Inner Loop Header: Depth=2
	s_sleep 1
	global_store_dwordx2 v[3:4], v[9:10], off
	v_mov_b32_e32 v7, s14
	v_mov_b32_e32 v8, s15
	s_waitcnt vmcnt(0)
	global_atomic_cmpswap_x2 v[7:8], v2, v[7:10], s[2:3] offset:32 glc
	s_waitcnt vmcnt(0)
	v_cmp_eq_u64_e32 vcc, v[7:8], v[9:10]
	v_mov_b32_e32 v10, v8
	s_or_b64 s[20:21], vcc, s[20:21]
	v_mov_b32_e32 v9, v7
	s_andn2_b64 exec, exec, s[20:21]
	s_cbranch_execnz .LBB3_1188
.LBB3_1189:                             ;   in Loop: Header=BB3_5 Depth=1
	s_or_b64 exec, exec, s[18:19]
	global_load_dwordx2 v[3:4], v2, s[2:3] offset:16
	s_mov_b64 s[20:21], exec
	v_mbcnt_lo_u32_b32 v1, s20, 0
	v_mbcnt_hi_u32_b32 v1, s21, v1
	v_cmp_eq_u32_e32 vcc, 0, v1
	s_and_saveexec_b64 s[18:19], vcc
	s_cbranch_execz .LBB3_1191
; %bb.1190:                             ;   in Loop: Header=BB3_5 Depth=1
	s_bcnt1_i32_b64 s20, s[20:21]
	v_mov_b32_e32 v1, s20
	s_waitcnt vmcnt(0)
	global_atomic_add_x2 v[3:4], v[1:2], off offset:8
.LBB3_1191:                             ;   in Loop: Header=BB3_5 Depth=1
	s_or_b64 exec, exec, s[18:19]
	s_waitcnt vmcnt(0)
	global_load_dwordx2 v[7:8], v[3:4], off offset:16
	s_waitcnt vmcnt(0)
	v_cmp_eq_u64_e32 vcc, 0, v[7:8]
	s_cbranch_vccnz .LBB3_1193
; %bb.1192:                             ;   in Loop: Header=BB3_5 Depth=1
	global_load_dword v1, v[3:4], off offset:24
	s_waitcnt vmcnt(0)
	v_readfirstlane_b32 s18, v1
	s_and_b32 m0, s18, 0xffffff
	global_store_dwordx2 v[7:8], v[1:2], off
	s_sendmsg sendmsg(MSG_INTERRUPT)
.LBB3_1193:                             ;   in Loop: Header=BB3_5 Depth=1
	s_or_b64 exec, exec, s[16:17]
	v_add_co_u32_e32 v3, vcc, v15, v38
	v_addc_co_u32_e32 v4, vcc, 0, v16, vcc
	s_branch .LBB3_1197
.LBB3_1194:                             ;   in Loop: Header=BB3_1197 Depth=2
	s_or_b64 exec, exec, s[16:17]
	v_readfirstlane_b32 s16, v1
	s_cmp_eq_u32 s16, 0
	s_cbranch_scc1 .LBB3_1196
; %bb.1195:                             ;   in Loop: Header=BB3_1197 Depth=2
	s_sleep 1
	s_cbranch_execnz .LBB3_1197
	s_branch .LBB3_1199
.LBB3_1196:                             ;   in Loop: Header=BB3_5 Depth=1
	s_branch .LBB3_1199
.LBB3_1197:                             ;   Parent Loop BB3_5 Depth=1
                                        ; =>  This Inner Loop Header: Depth=2
	v_mov_b32_e32 v1, 1
	s_and_saveexec_b64 s[16:17], s[0:1]
	s_cbranch_execz .LBB3_1194
; %bb.1198:                             ;   in Loop: Header=BB3_1197 Depth=2
	global_load_dword v1, v[17:18], off offset:20 glc
	s_waitcnt vmcnt(0)
	buffer_wbinvl1_vol
	v_and_b32_e32 v1, 1, v1
	s_branch .LBB3_1194
.LBB3_1199:                             ;   in Loop: Header=BB3_5 Depth=1
	global_load_dwordx2 v[7:8], v[3:4], off
	s_and_saveexec_b64 s[16:17], s[0:1]
	s_cbranch_execz .LBB3_1203
; %bb.1200:                             ;   in Loop: Header=BB3_5 Depth=1
	global_load_dwordx2 v[3:4], v2, s[2:3] offset:40
	global_load_dwordx2 v[13:14], v2, s[2:3] offset:24 glc
	global_load_dwordx2 v[9:10], v2, s[2:3]
	s_waitcnt vmcnt(2)
	v_readfirstlane_b32 s18, v3
	v_readfirstlane_b32 s19, v4
	s_add_u32 s20, s18, 1
	s_addc_u32 s21, s19, 0
	s_add_u32 s0, s20, s14
	s_addc_u32 s1, s21, s15
	s_cmp_eq_u64 s[0:1], 0
	s_cselect_b32 s1, s21, s1
	s_cselect_b32 s0, s20, s0
	s_and_b64 s[14:15], s[0:1], s[18:19]
	s_mul_i32 s15, s15, 24
	s_mul_hi_u32 s18, s14, 24
	s_mul_i32 s14, s14, 24
	s_add_i32 s15, s18, s15
	v_mov_b32_e32 v1, s15
	s_waitcnt vmcnt(0)
	v_add_co_u32_e32 v3, vcc, s14, v9
	v_addc_co_u32_e32 v4, vcc, v10, v1, vcc
	v_mov_b32_e32 v11, s0
	global_store_dwordx2 v[3:4], v[13:14], off
	v_mov_b32_e32 v12, s1
	s_waitcnt vmcnt(0)
	global_atomic_cmpswap_x2 v[11:12], v2, v[11:14], s[2:3] offset:24 glc
	s_waitcnt vmcnt(0)
	v_cmp_ne_u64_e32 vcc, v[11:12], v[13:14]
	s_and_b64 exec, exec, vcc
	s_cbranch_execz .LBB3_1203
; %bb.1201:                             ;   in Loop: Header=BB3_5 Depth=1
	s_mov_b64 s[14:15], 0
.LBB3_1202:                             ;   Parent Loop BB3_5 Depth=1
                                        ; =>  This Inner Loop Header: Depth=2
	s_sleep 1
	global_store_dwordx2 v[3:4], v[11:12], off
	v_mov_b32_e32 v9, s0
	v_mov_b32_e32 v10, s1
	s_waitcnt vmcnt(0)
	global_atomic_cmpswap_x2 v[9:10], v2, v[9:12], s[2:3] offset:24 glc
	s_waitcnt vmcnt(0)
	v_cmp_eq_u64_e32 vcc, v[9:10], v[11:12]
	v_mov_b32_e32 v12, v10
	s_or_b64 s[14:15], vcc, s[14:15]
	v_mov_b32_e32 v11, v9
	s_andn2_b64 exec, exec, s[14:15]
	s_cbranch_execnz .LBB3_1202
.LBB3_1203:                             ;   in Loop: Header=BB3_5 Depth=1
	s_or_b64 exec, exec, s[16:17]
	v_readfirstlane_b32 s0, v36
	v_mov_b32_e32 v3, 0
	v_mov_b32_e32 v4, 0
	v_cmp_eq_u32_e64 s[0:1], s0, v36
	s_and_saveexec_b64 s[14:15], s[0:1]
	s_cbranch_execz .LBB3_1209
; %bb.1204:                             ;   in Loop: Header=BB3_5 Depth=1
	global_load_dwordx2 v[11:12], v2, s[2:3] offset:24 glc
	s_waitcnt vmcnt(0)
	buffer_wbinvl1_vol
	global_load_dwordx2 v[3:4], v2, s[2:3] offset:40
	global_load_dwordx2 v[9:10], v2, s[2:3]
	s_waitcnt vmcnt(1)
	v_and_b32_e32 v1, v3, v11
	v_and_b32_e32 v3, v4, v12
	v_mul_lo_u32 v3, v3, 24
	v_mul_hi_u32 v4, v1, 24
	v_mul_lo_u32 v1, v1, 24
	v_add_u32_e32 v4, v4, v3
	s_waitcnt vmcnt(0)
	v_add_co_u32_e32 v3, vcc, v9, v1
	v_addc_co_u32_e32 v4, vcc, v10, v4, vcc
	global_load_dwordx2 v[9:10], v[3:4], off glc
	s_waitcnt vmcnt(0)
	global_atomic_cmpswap_x2 v[3:4], v2, v[9:12], s[2:3] offset:24 glc
	s_waitcnt vmcnt(0)
	buffer_wbinvl1_vol
	v_cmp_ne_u64_e32 vcc, v[3:4], v[11:12]
	s_and_saveexec_b64 s[16:17], vcc
	s_cbranch_execz .LBB3_1208
; %bb.1205:                             ;   in Loop: Header=BB3_5 Depth=1
	s_mov_b64 s[18:19], 0
.LBB3_1206:                             ;   Parent Loop BB3_5 Depth=1
                                        ; =>  This Inner Loop Header: Depth=2
	s_sleep 1
	global_load_dwordx2 v[9:10], v2, s[2:3] offset:40
	global_load_dwordx2 v[13:14], v2, s[2:3]
	v_mov_b32_e32 v12, v4
	v_mov_b32_e32 v11, v3
	s_waitcnt vmcnt(1)
	v_and_b32_e32 v1, v9, v11
	s_waitcnt vmcnt(0)
	v_mad_u64_u32 v[3:4], s[20:21], v1, 24, v[13:14]
	v_and_b32_e32 v9, v10, v12
	v_mov_b32_e32 v1, v4
	v_mad_u64_u32 v[9:10], s[20:21], v9, 24, v[1:2]
	v_mov_b32_e32 v4, v9
	global_load_dwordx2 v[9:10], v[3:4], off glc
	s_waitcnt vmcnt(0)
	global_atomic_cmpswap_x2 v[3:4], v2, v[9:12], s[2:3] offset:24 glc
	s_waitcnt vmcnt(0)
	buffer_wbinvl1_vol
	v_cmp_eq_u64_e32 vcc, v[3:4], v[11:12]
	s_or_b64 s[18:19], vcc, s[18:19]
	s_andn2_b64 exec, exec, s[18:19]
	s_cbranch_execnz .LBB3_1206
; %bb.1207:                             ;   in Loop: Header=BB3_5 Depth=1
	s_or_b64 exec, exec, s[18:19]
.LBB3_1208:                             ;   in Loop: Header=BB3_5 Depth=1
	s_or_b64 exec, exec, s[16:17]
.LBB3_1209:                             ;   in Loop: Header=BB3_5 Depth=1
	s_or_b64 exec, exec, s[14:15]
	global_load_dwordx2 v[9:10], v2, s[2:3] offset:40
	global_load_dwordx4 v[11:14], v2, s[2:3]
	v_readfirstlane_b32 s15, v4
	v_readfirstlane_b32 s14, v3
	s_mov_b64 s[16:17], exec
	s_waitcnt vmcnt(1)
	v_readfirstlane_b32 s18, v9
	v_readfirstlane_b32 s19, v10
	s_and_b64 s[18:19], s[18:19], s[14:15]
	s_mul_i32 s20, s19, 24
	s_mul_hi_u32 s21, s18, 24
	s_mul_i32 s22, s18, 24
	s_add_i32 s20, s21, s20
	v_mov_b32_e32 v1, s20
	s_waitcnt vmcnt(0)
	v_add_co_u32_e32 v15, vcc, s22, v11
	v_addc_co_u32_e32 v16, vcc, v12, v1, vcc
	s_and_saveexec_b64 s[20:21], s[0:1]
	s_cbranch_execz .LBB3_1211
; %bb.1210:                             ;   in Loop: Header=BB3_5 Depth=1
	v_mov_b32_e32 v3, s16
	v_mov_b32_e32 v4, s17
	global_store_dwordx4 v[15:16], v[3:6], off offset:8
.LBB3_1211:                             ;   in Loop: Header=BB3_5 Depth=1
	s_or_b64 exec, exec, s[20:21]
	s_lshl_b64 s[16:17], s[18:19], 12
	v_mov_b32_e32 v1, s17
	v_add_co_u32_e32 v13, vcc, s16, v13
	v_addc_co_u32_e32 v14, vcc, v14, v1, vcc
	s_mul_i32 s16, s31, 0x3e8
	v_and_or_b32 v7, v7, s30, 34
	v_mov_b32_e32 v9, s16
	v_mov_b32_e32 v10, v2
	v_readfirstlane_b32 s16, v13
	v_readfirstlane_b32 s17, v14
	s_nop 4
	global_store_dwordx4 v38, v[7:10], s[16:17]
	s_nop 0
	v_mov_b32_e32 v7, s8
	v_mov_b32_e32 v8, s9
	;; [unrolled: 1-line block ×4, first 2 shown]
	global_store_dwordx4 v38, v[7:10], s[16:17] offset:16
	global_store_dwordx4 v38, v[7:10], s[16:17] offset:32
	;; [unrolled: 1-line block ×3, first 2 shown]
	s_and_saveexec_b64 s[16:17], s[0:1]
	s_cbranch_execz .LBB3_1219
; %bb.1212:                             ;   in Loop: Header=BB3_5 Depth=1
	global_load_dwordx2 v[19:20], v2, s[2:3] offset:32 glc
	global_load_dwordx2 v[3:4], v2, s[2:3] offset:40
	v_mov_b32_e32 v17, s14
	v_mov_b32_e32 v18, s15
	s_waitcnt vmcnt(0)
	v_readfirstlane_b32 s18, v3
	v_readfirstlane_b32 s19, v4
	s_and_b64 s[18:19], s[18:19], s[14:15]
	s_mul_i32 s19, s19, 24
	s_mul_hi_u32 s20, s18, 24
	s_mul_i32 s18, s18, 24
	s_add_i32 s19, s20, s19
	v_mov_b32_e32 v1, s19
	v_add_co_u32_e32 v3, vcc, s18, v11
	v_addc_co_u32_e32 v4, vcc, v12, v1, vcc
	global_store_dwordx2 v[3:4], v[19:20], off
	s_waitcnt vmcnt(0)
	global_atomic_cmpswap_x2 v[9:10], v2, v[17:20], s[2:3] offset:32 glc
	s_waitcnt vmcnt(0)
	v_cmp_ne_u64_e32 vcc, v[9:10], v[19:20]
	s_and_saveexec_b64 s[18:19], vcc
	s_cbranch_execz .LBB3_1215
; %bb.1213:                             ;   in Loop: Header=BB3_5 Depth=1
	s_mov_b64 s[20:21], 0
.LBB3_1214:                             ;   Parent Loop BB3_5 Depth=1
                                        ; =>  This Inner Loop Header: Depth=2
	s_sleep 1
	global_store_dwordx2 v[3:4], v[9:10], off
	v_mov_b32_e32 v7, s14
	v_mov_b32_e32 v8, s15
	s_waitcnt vmcnt(0)
	global_atomic_cmpswap_x2 v[7:8], v2, v[7:10], s[2:3] offset:32 glc
	s_waitcnt vmcnt(0)
	v_cmp_eq_u64_e32 vcc, v[7:8], v[9:10]
	v_mov_b32_e32 v10, v8
	s_or_b64 s[20:21], vcc, s[20:21]
	v_mov_b32_e32 v9, v7
	s_andn2_b64 exec, exec, s[20:21]
	s_cbranch_execnz .LBB3_1214
.LBB3_1215:                             ;   in Loop: Header=BB3_5 Depth=1
	s_or_b64 exec, exec, s[18:19]
	global_load_dwordx2 v[3:4], v2, s[2:3] offset:16
	s_mov_b64 s[20:21], exec
	v_mbcnt_lo_u32_b32 v1, s20, 0
	v_mbcnt_hi_u32_b32 v1, s21, v1
	v_cmp_eq_u32_e32 vcc, 0, v1
	s_and_saveexec_b64 s[18:19], vcc
	s_cbranch_execz .LBB3_1217
; %bb.1216:                             ;   in Loop: Header=BB3_5 Depth=1
	s_bcnt1_i32_b64 s20, s[20:21]
	v_mov_b32_e32 v1, s20
	s_waitcnt vmcnt(0)
	global_atomic_add_x2 v[3:4], v[1:2], off offset:8
.LBB3_1217:                             ;   in Loop: Header=BB3_5 Depth=1
	s_or_b64 exec, exec, s[18:19]
	s_waitcnt vmcnt(0)
	global_load_dwordx2 v[7:8], v[3:4], off offset:16
	s_waitcnt vmcnt(0)
	v_cmp_eq_u64_e32 vcc, 0, v[7:8]
	s_cbranch_vccnz .LBB3_1219
; %bb.1218:                             ;   in Loop: Header=BB3_5 Depth=1
	global_load_dword v1, v[3:4], off offset:24
	s_waitcnt vmcnt(0)
	v_readfirstlane_b32 s18, v1
	s_and_b32 m0, s18, 0xffffff
	global_store_dwordx2 v[7:8], v[1:2], off
	s_sendmsg sendmsg(MSG_INTERRUPT)
.LBB3_1219:                             ;   in Loop: Header=BB3_5 Depth=1
	s_or_b64 exec, exec, s[16:17]
	v_add_co_u32_e32 v3, vcc, v13, v38
	v_addc_co_u32_e32 v4, vcc, 0, v14, vcc
	s_branch .LBB3_1223
.LBB3_1220:                             ;   in Loop: Header=BB3_1223 Depth=2
	s_or_b64 exec, exec, s[16:17]
	v_readfirstlane_b32 s16, v1
	s_cmp_eq_u32 s16, 0
	s_cbranch_scc1 .LBB3_1222
; %bb.1221:                             ;   in Loop: Header=BB3_1223 Depth=2
	s_sleep 1
	s_cbranch_execnz .LBB3_1223
	s_branch .LBB3_1225
.LBB3_1222:                             ;   in Loop: Header=BB3_5 Depth=1
	s_branch .LBB3_1225
.LBB3_1223:                             ;   Parent Loop BB3_5 Depth=1
                                        ; =>  This Inner Loop Header: Depth=2
	v_mov_b32_e32 v1, 1
	s_and_saveexec_b64 s[16:17], s[0:1]
	s_cbranch_execz .LBB3_1220
; %bb.1224:                             ;   in Loop: Header=BB3_1223 Depth=2
	global_load_dword v1, v[15:16], off offset:20 glc
	s_waitcnt vmcnt(0)
	buffer_wbinvl1_vol
	v_and_b32_e32 v1, 1, v1
	s_branch .LBB3_1220
.LBB3_1225:                             ;   in Loop: Header=BB3_5 Depth=1
	global_load_dwordx2 v[3:4], v[3:4], off
	s_and_saveexec_b64 s[16:17], s[0:1]
	s_cbranch_execz .LBB3_4
; %bb.1226:                             ;   in Loop: Header=BB3_5 Depth=1
	global_load_dwordx2 v[7:8], v2, s[2:3] offset:40
	global_load_dwordx2 v[15:16], v2, s[2:3] offset:24 glc
	global_load_dwordx2 v[9:10], v2, s[2:3]
	s_waitcnt vmcnt(2)
	v_readfirstlane_b32 s18, v7
	v_readfirstlane_b32 s19, v8
	s_add_u32 s20, s18, 1
	s_addc_u32 s21, s19, 0
	s_add_u32 s0, s20, s14
	s_addc_u32 s1, s21, s15
	s_cmp_eq_u64 s[0:1], 0
	s_cselect_b32 s1, s21, s1
	s_cselect_b32 s0, s20, s0
	s_and_b64 s[14:15], s[0:1], s[18:19]
	s_mul_i32 s15, s15, 24
	s_mul_hi_u32 s18, s14, 24
	s_mul_i32 s14, s14, 24
	s_add_i32 s15, s18, s15
	v_mov_b32_e32 v1, s15
	s_waitcnt vmcnt(0)
	v_add_co_u32_e32 v11, vcc, s14, v9
	v_addc_co_u32_e32 v12, vcc, v10, v1, vcc
	v_mov_b32_e32 v13, s0
	global_store_dwordx2 v[11:12], v[15:16], off
	v_mov_b32_e32 v14, s1
	s_waitcnt vmcnt(0)
	global_atomic_cmpswap_x2 v[9:10], v2, v[13:16], s[2:3] offset:24 glc
	s_waitcnt vmcnt(0)
	v_cmp_ne_u64_e32 vcc, v[9:10], v[15:16]
	s_and_b64 exec, exec, vcc
	s_cbranch_execz .LBB3_4
; %bb.1227:                             ;   in Loop: Header=BB3_5 Depth=1
	s_mov_b64 s[14:15], 0
.LBB3_1228:                             ;   Parent Loop BB3_5 Depth=1
                                        ; =>  This Inner Loop Header: Depth=2
	s_sleep 1
	global_store_dwordx2 v[11:12], v[9:10], off
	v_mov_b32_e32 v7, s0
	v_mov_b32_e32 v8, s1
	s_waitcnt vmcnt(0)
	global_atomic_cmpswap_x2 v[7:8], v2, v[7:10], s[2:3] offset:24 glc
	s_waitcnt vmcnt(0)
	v_cmp_eq_u64_e32 vcc, v[7:8], v[9:10]
	v_mov_b32_e32 v10, v8
	s_or_b64 s[14:15], vcc, s[14:15]
	v_mov_b32_e32 v9, v7
	s_andn2_b64 exec, exec, s[14:15]
	s_cbranch_execnz .LBB3_1228
	s_branch .LBB3_4
.LBB3_1229:
	s_load_dwordx2 s[0:1], s[4:5], 0x8
	v_lshlrev_b64 v[0:1], 2, v[29:30]
	s_waitcnt lgkmcnt(0)
	v_mov_b32_e32 v2, s1
	v_add_co_u32_e32 v0, vcc, s0, v0
	v_addc_co_u32_e32 v1, vcc, v2, v1, vcc
	global_store_dword v[0:1], v37, off
	s_endpgm
	.section	.rodata,"a",@progbits
	.p2align	6, 0x0
	.amdhsa_kernel _ZN19hipPrintfStressTest25kernel_printf_variablestrEjPi
		.amdhsa_group_segment_fixed_size 0
		.amdhsa_private_segment_fixed_size 0
		.amdhsa_kernarg_size 272
		.amdhsa_user_sgpr_count 6
		.amdhsa_user_sgpr_private_segment_buffer 1
		.amdhsa_user_sgpr_dispatch_ptr 0
		.amdhsa_user_sgpr_queue_ptr 0
		.amdhsa_user_sgpr_kernarg_segment_ptr 1
		.amdhsa_user_sgpr_dispatch_id 0
		.amdhsa_user_sgpr_flat_scratch_init 0
		.amdhsa_user_sgpr_private_segment_size 0
		.amdhsa_uses_dynamic_stack 0
		.amdhsa_system_sgpr_private_segment_wavefront_offset 0
		.amdhsa_system_sgpr_workgroup_id_x 1
		.amdhsa_system_sgpr_workgroup_id_y 0
		.amdhsa_system_sgpr_workgroup_id_z 0
		.amdhsa_system_sgpr_workgroup_info 0
		.amdhsa_system_vgpr_workitem_id 0
		.amdhsa_next_free_vgpr 40
		.amdhsa_next_free_sgpr 34
		.amdhsa_reserve_vcc 1
		.amdhsa_reserve_flat_scratch 0
		.amdhsa_float_round_mode_32 0
		.amdhsa_float_round_mode_16_64 0
		.amdhsa_float_denorm_mode_32 3
		.amdhsa_float_denorm_mode_16_64 3
		.amdhsa_dx10_clamp 1
		.amdhsa_ieee_mode 1
		.amdhsa_fp16_overflow 0
		.amdhsa_exception_fp_ieee_invalid_op 0
		.amdhsa_exception_fp_denorm_src 0
		.amdhsa_exception_fp_ieee_div_zero 0
		.amdhsa_exception_fp_ieee_overflow 0
		.amdhsa_exception_fp_ieee_underflow 0
		.amdhsa_exception_fp_ieee_inexact 0
		.amdhsa_exception_int_div_zero 0
	.end_amdhsa_kernel
	.text
.Lfunc_end3:
	.size	_ZN19hipPrintfStressTest25kernel_printf_variablestrEjPi, .Lfunc_end3-_ZN19hipPrintfStressTest25kernel_printf_variablestrEjPi
                                        ; -- End function
	.set _ZN19hipPrintfStressTest25kernel_printf_variablestrEjPi.num_vgpr, 40
	.set _ZN19hipPrintfStressTest25kernel_printf_variablestrEjPi.num_agpr, 0
	.set _ZN19hipPrintfStressTest25kernel_printf_variablestrEjPi.numbered_sgpr, 34
	.set _ZN19hipPrintfStressTest25kernel_printf_variablestrEjPi.num_named_barrier, 0
	.set _ZN19hipPrintfStressTest25kernel_printf_variablestrEjPi.private_seg_size, 0
	.set _ZN19hipPrintfStressTest25kernel_printf_variablestrEjPi.uses_vcc, 1
	.set _ZN19hipPrintfStressTest25kernel_printf_variablestrEjPi.uses_flat_scratch, 0
	.set _ZN19hipPrintfStressTest25kernel_printf_variablestrEjPi.has_dyn_sized_stack, 0
	.set _ZN19hipPrintfStressTest25kernel_printf_variablestrEjPi.has_recursion, 0
	.set _ZN19hipPrintfStressTest25kernel_printf_variablestrEjPi.has_indirect_call, 0
	.section	.AMDGPU.csdata,"",@progbits
; Kernel info:
; codeLenInByte = 40656
; TotalNumSgprs: 38
; NumVgprs: 40
; ScratchSize: 0
; MemoryBound: 0
; FloatMode: 240
; IeeeMode: 1
; LDSByteSize: 0 bytes/workgroup (compile time only)
; SGPRBlocks: 4
; VGPRBlocks: 9
; NumSGPRsForWavesPerEU: 38
; NumVGPRsForWavesPerEU: 40
; Occupancy: 6
; WaveLimiterHint : 1
; COMPUTE_PGM_RSRC2:SCRATCH_EN: 0
; COMPUTE_PGM_RSRC2:USER_SGPR: 6
; COMPUTE_PGM_RSRC2:TRAP_HANDLER: 0
; COMPUTE_PGM_RSRC2:TGID_X_EN: 1
; COMPUTE_PGM_RSRC2:TGID_Y_EN: 0
; COMPUTE_PGM_RSRC2:TGID_Z_EN: 0
; COMPUTE_PGM_RSRC2:TIDIG_COMP_CNT: 0
	.text
	.protected	_ZN19hipPrintfStressTest21kernel_dependent_calcEjPi ; -- Begin function _ZN19hipPrintfStressTest21kernel_dependent_calcEjPi
	.globl	_ZN19hipPrintfStressTest21kernel_dependent_calcEjPi
	.p2align	8
	.type	_ZN19hipPrintfStressTest21kernel_dependent_calcEjPi,@function
_ZN19hipPrintfStressTest21kernel_dependent_calcEjPi: ; @_ZN19hipPrintfStressTest21kernel_dependent_calcEjPi
; %bb.0:
	s_load_dword s2, s[4:5], 0x1c
	s_load_dword s28, s[4:5], 0x0
	s_add_u32 s0, s4, 16
	s_addc_u32 s1, s5, 0
	s_waitcnt lgkmcnt(0)
	s_and_b32 s2, s2, 0xffff
	s_mul_i32 s6, s6, s2
	s_cmp_lt_i32 s28, 1
	v_add_u32_e32 v35, s6, v0
	s_cbranch_scc1 .LBB4_1123
; %bb.1:
	v_add_u32_e32 v39, 1, v35
	v_cvt_f32_u32_e32 v0, v39
	v_mbcnt_lo_u32_b32 v1, -1, 0
	v_not_b32_e32 v3, v35
	v_mbcnt_hi_u32_b32 v40, -1, v1
	v_rcp_iflag_f32_e32 v0, v0
	s_load_dwordx2 s[2:3], s[0:1], 0x50
	s_getpc_b64 s[0:1]
	s_add_u32 s0, s0, .str.7@rel32@lo+4
	s_addc_u32 s1, s1, .str.7@rel32@hi+12
	s_cmp_lg_u64 s[0:1], 0
	v_mul_f32_e32 v0, 0x4f7ffffe, v0
	v_cvt_u32_f32_e32 v0, v0
	s_cselect_b64 s[6:7], -1, 0
	s_getpc_b64 s[0:1]
	s_add_u32 s0, s0, .str.6@rel32@lo+4
	s_addc_u32 s1, s1, .str.6@rel32@hi+12
	v_mov_b32_e32 v2, 0
	v_mul_lo_u32 v1, v3, v0
	s_mov_b32 s8, 0
	s_cmp_lg_u64 s[0:1], 0
	s_mov_b32 s9, s8
	v_mul_hi_u32 v1, v0, v1
	s_mov_b32 s10, s8
	s_mov_b32 s11, s8
	s_cselect_b64 s[12:13], -1, 0
	v_add_u32_e32 v42, v0, v1
	s_movk_i32 s29, 0xff1f
	s_movk_i32 s30, 0xff1d
	v_mov_b32_e32 v5, 2
	v_mov_b32_e32 v6, 1
	;; [unrolled: 1-line block ×4, first 2 shown]
	s_mov_b32 s31, s8
	s_branch .LBB4_3
.LBB4_2:                                ;   in Loop: Header=BB4_3 Depth=1
	s_or_b64 exec, exec, s[16:17]
	v_add3_u32 v1, v41, v36, v37
	s_add_i32 s31, s31, 1
	s_cmp_eq_u32 s31, s28
	s_waitcnt vmcnt(0)
	v_add3_u32 v41, v1, v33, v3
	s_cbranch_scc1 .LBB4_1124
.LBB4_3:                                ; =>This Loop Header: Depth=1
                                        ;     Child Loop BB4_6 Depth 2
                                        ;     Child Loop BB4_14 Depth 2
                                        ;     Child Loop BB4_23 Depth 2
                                        ;     Child Loop BB4_28 Depth 2
                                        ;     Child Loop BB4_205 Depth 2
                                        ;     Child Loop BB4_213 Depth 2
                                        ;     Child Loop BB4_222 Depth 2
                                        ;     Child Loop BB4_227 Depth 2
                                        ;     Child Loop BB4_32 Depth 2
                                        ;       Child Loop BB4_35 Depth 3
                                        ;       Child Loop BB4_43 Depth 3
                                        ;       Child Loop BB4_51 Depth 3
                                        ;       Child Loop BB4_59 Depth 3
                                        ;       Child Loop BB4_67 Depth 3
                                        ;       Child Loop BB4_75 Depth 3
                                        ;       Child Loop BB4_83 Depth 3
                                        ;       Child Loop BB4_91 Depth 3
                                        ;       Child Loop BB4_99 Depth 3
                                        ;       Child Loop BB4_108 Depth 3
                                        ;       Child Loop BB4_113 Depth 3
                                        ;     Child Loop BB4_233 Depth 2
                                        ;     Child Loop BB4_241 Depth 2
                                        ;     Child Loop BB4_250 Depth 2
                                        ;     Child Loop BB4_255 Depth 2
                                        ;     Child Loop BB4_118 Depth 2
                                        ;       Child Loop BB4_121 Depth 3
                                        ;       Child Loop BB4_129 Depth 3
                                        ;       Child Loop BB4_137 Depth 3
                                        ;       Child Loop BB4_145 Depth 3
                                        ;       Child Loop BB4_153 Depth 3
                                        ;       Child Loop BB4_161 Depth 3
                                        ;       Child Loop BB4_169 Depth 3
                                        ;       Child Loop BB4_177 Depth 3
                                        ;       Child Loop BB4_185 Depth 3
                                        ;       Child Loop BB4_194 Depth 3
                                        ;       Child Loop BB4_199 Depth 3
                                        ;     Child Loop BB4_260 Depth 2
                                        ;     Child Loop BB4_268 Depth 2
                                        ;     Child Loop BB4_277 Depth 2
                                        ;     Child Loop BB4_282 Depth 2
                                        ;     Child Loop BB4_286 Depth 2
                                        ;     Child Loop BB4_294 Depth 2
                                        ;     Child Loop BB4_303 Depth 2
                                        ;     Child Loop BB4_308 Depth 2
                                        ;     Child Loop BB4_485 Depth 2
                                        ;     Child Loop BB4_493 Depth 2
                                        ;     Child Loop BB4_502 Depth 2
                                        ;     Child Loop BB4_507 Depth 2
                                        ;     Child Loop BB4_312 Depth 2
                                        ;       Child Loop BB4_315 Depth 3
                                        ;       Child Loop BB4_323 Depth 3
                                        ;       Child Loop BB4_331 Depth 3
                                        ;       Child Loop BB4_339 Depth 3
                                        ;       Child Loop BB4_347 Depth 3
                                        ;       Child Loop BB4_355 Depth 3
                                        ;       Child Loop BB4_363 Depth 3
                                        ;       Child Loop BB4_371 Depth 3
                                        ;       Child Loop BB4_379 Depth 3
                                        ;       Child Loop BB4_388 Depth 3
                                        ;       Child Loop BB4_393 Depth 3
                                        ;     Child Loop BB4_513 Depth 2
                                        ;     Child Loop BB4_521 Depth 2
                                        ;     Child Loop BB4_530 Depth 2
                                        ;     Child Loop BB4_535 Depth 2
                                        ;     Child Loop BB4_398 Depth 2
                                        ;       Child Loop BB4_401 Depth 3
                                        ;       Child Loop BB4_409 Depth 3
                                        ;       Child Loop BB4_417 Depth 3
                                        ;       Child Loop BB4_425 Depth 3
                                        ;       Child Loop BB4_433 Depth 3
                                        ;       Child Loop BB4_441 Depth 3
                                        ;       Child Loop BB4_449 Depth 3
                                        ;       Child Loop BB4_457 Depth 3
                                        ;       Child Loop BB4_465 Depth 3
                                        ;       Child Loop BB4_474 Depth 3
                                        ;       Child Loop BB4_479 Depth 3
                                        ;     Child Loop BB4_540 Depth 2
                                        ;     Child Loop BB4_548 Depth 2
                                        ;     Child Loop BB4_557 Depth 2
                                        ;     Child Loop BB4_562 Depth 2
	;; [unrolled: 40-line block ×4, first 2 shown]
	v_readfirstlane_b32 s0, v40
	v_mov_b32_e32 v3, 0
	v_mov_b32_e32 v4, 0
	v_cmp_eq_u32_e64 s[0:1], s0, v40
	s_and_saveexec_b64 s[14:15], s[0:1]
	s_cbranch_execz .LBB4_9
; %bb.4:                                ;   in Loop: Header=BB4_3 Depth=1
	s_waitcnt lgkmcnt(0)
	global_load_dwordx2 v[9:10], v2, s[2:3] offset:24 glc
	s_waitcnt vmcnt(0)
	buffer_wbinvl1_vol
	global_load_dwordx2 v[3:4], v2, s[2:3] offset:40
	global_load_dwordx2 v[7:8], v2, s[2:3]
	s_waitcnt vmcnt(1)
	v_and_b32_e32 v1, v3, v9
	v_and_b32_e32 v3, v4, v10
	v_mul_lo_u32 v3, v3, 24
	v_mul_hi_u32 v4, v1, 24
	v_mul_lo_u32 v1, v1, 24
	v_add_u32_e32 v4, v4, v3
	s_waitcnt vmcnt(0)
	v_add_co_u32_e32 v3, vcc, v7, v1
	v_addc_co_u32_e32 v4, vcc, v8, v4, vcc
	global_load_dwordx2 v[7:8], v[3:4], off glc
	s_waitcnt vmcnt(0)
	global_atomic_cmpswap_x2 v[3:4], v2, v[7:10], s[2:3] offset:24 glc
	s_waitcnt vmcnt(0)
	buffer_wbinvl1_vol
	v_cmp_ne_u64_e32 vcc, v[3:4], v[9:10]
	s_and_saveexec_b64 s[16:17], vcc
	s_cbranch_execz .LBB4_8
; %bb.5:                                ;   in Loop: Header=BB4_3 Depth=1
	s_mov_b64 s[18:19], 0
.LBB4_6:                                ;   Parent Loop BB4_3 Depth=1
                                        ; =>  This Inner Loop Header: Depth=2
	s_sleep 1
	global_load_dwordx2 v[7:8], v2, s[2:3] offset:40
	global_load_dwordx2 v[11:12], v2, s[2:3]
	v_mov_b32_e32 v10, v4
	v_mov_b32_e32 v9, v3
	s_waitcnt vmcnt(1)
	v_and_b32_e32 v1, v7, v9
	s_waitcnt vmcnt(0)
	v_mad_u64_u32 v[3:4], s[20:21], v1, 24, v[11:12]
	v_and_b32_e32 v7, v8, v10
	v_mov_b32_e32 v1, v4
	v_mad_u64_u32 v[7:8], s[20:21], v7, 24, v[1:2]
	v_mov_b32_e32 v4, v7
	global_load_dwordx2 v[7:8], v[3:4], off glc
	s_waitcnt vmcnt(0)
	global_atomic_cmpswap_x2 v[3:4], v2, v[7:10], s[2:3] offset:24 glc
	s_waitcnt vmcnt(0)
	buffer_wbinvl1_vol
	v_cmp_eq_u64_e32 vcc, v[3:4], v[9:10]
	s_or_b64 s[18:19], vcc, s[18:19]
	s_andn2_b64 exec, exec, s[18:19]
	s_cbranch_execnz .LBB4_6
; %bb.7:                                ;   in Loop: Header=BB4_3 Depth=1
	s_or_b64 exec, exec, s[18:19]
.LBB4_8:                                ;   in Loop: Header=BB4_3 Depth=1
	s_or_b64 exec, exec, s[16:17]
.LBB4_9:                                ;   in Loop: Header=BB4_3 Depth=1
	s_or_b64 exec, exec, s[14:15]
	s_waitcnt lgkmcnt(0)
	global_load_dwordx2 v[11:12], v2, s[2:3] offset:40
	global_load_dwordx4 v[7:10], v2, s[2:3]
	v_readfirstlane_b32 s15, v4
	v_readfirstlane_b32 s14, v3
	s_mov_b64 s[16:17], exec
	s_waitcnt vmcnt(1)
	v_readfirstlane_b32 s18, v11
	v_readfirstlane_b32 s19, v12
	s_and_b64 s[18:19], s[18:19], s[14:15]
	s_mul_i32 s20, s19, 24
	s_mul_hi_u32 s21, s18, 24
	s_mul_i32 s22, s18, 24
	s_add_i32 s20, s21, s20
	v_mov_b32_e32 v1, s20
	s_waitcnt vmcnt(0)
	v_add_co_u32_e32 v11, vcc, s22, v7
	v_addc_co_u32_e32 v12, vcc, v8, v1, vcc
	s_and_saveexec_b64 s[20:21], s[0:1]
	s_cbranch_execz .LBB4_11
; %bb.10:                               ;   in Loop: Header=BB4_3 Depth=1
	v_mov_b32_e32 v3, s16
	v_mov_b32_e32 v4, s17
	global_store_dwordx4 v[11:12], v[3:6], off offset:8
.LBB4_11:                               ;   in Loop: Header=BB4_3 Depth=1
	s_or_b64 exec, exec, s[20:21]
	s_lshl_b64 s[16:17], s[18:19], 12
	v_mov_b32_e32 v1, s17
	v_add_co_u32_e32 v13, vcc, s16, v9
	v_addc_co_u32_e32 v14, vcc, v10, v1, vcc
	v_mov_b32_e32 v18, s11
	v_lshlrev_b32_e32 v43, 6, v40
	v_mov_b32_e32 v1, v2
	v_mov_b32_e32 v3, v2
	v_readfirstlane_b32 s16, v13
	v_readfirstlane_b32 s17, v14
	v_mov_b32_e32 v17, s10
	v_mov_b32_e32 v16, s9
	v_mov_b32_e32 v15, s8
	s_nop 1
	global_store_dwordx4 v43, v[0:3], s[16:17]
	global_store_dwordx4 v43, v[15:18], s[16:17] offset:16
	global_store_dwordx4 v43, v[15:18], s[16:17] offset:32
	;; [unrolled: 1-line block ×3, first 2 shown]
	s_and_saveexec_b64 s[16:17], s[0:1]
	s_cbranch_execz .LBB4_19
; %bb.12:                               ;   in Loop: Header=BB4_3 Depth=1
	global_load_dwordx2 v[17:18], v2, s[2:3] offset:32 glc
	global_load_dwordx2 v[3:4], v2, s[2:3] offset:40
	v_mov_b32_e32 v15, s14
	v_mov_b32_e32 v16, s15
	s_waitcnt vmcnt(0)
	v_readfirstlane_b32 s18, v3
	v_readfirstlane_b32 s19, v4
	s_and_b64 s[18:19], s[18:19], s[14:15]
	s_mul_i32 s19, s19, 24
	s_mul_hi_u32 s20, s18, 24
	s_mul_i32 s18, s18, 24
	s_add_i32 s19, s20, s19
	v_mov_b32_e32 v1, s19
	v_add_co_u32_e32 v3, vcc, s18, v7
	v_addc_co_u32_e32 v4, vcc, v8, v1, vcc
	global_store_dwordx2 v[3:4], v[17:18], off
	s_waitcnt vmcnt(0)
	global_atomic_cmpswap_x2 v[9:10], v2, v[15:18], s[2:3] offset:32 glc
	s_waitcnt vmcnt(0)
	v_cmp_ne_u64_e32 vcc, v[9:10], v[17:18]
	s_and_saveexec_b64 s[18:19], vcc
	s_cbranch_execz .LBB4_15
; %bb.13:                               ;   in Loop: Header=BB4_3 Depth=1
	s_mov_b64 s[20:21], 0
.LBB4_14:                               ;   Parent Loop BB4_3 Depth=1
                                        ; =>  This Inner Loop Header: Depth=2
	s_sleep 1
	global_store_dwordx2 v[3:4], v[9:10], off
	v_mov_b32_e32 v7, s14
	v_mov_b32_e32 v8, s15
	s_waitcnt vmcnt(0)
	global_atomic_cmpswap_x2 v[7:8], v2, v[7:10], s[2:3] offset:32 glc
	s_waitcnt vmcnt(0)
	v_cmp_eq_u64_e32 vcc, v[7:8], v[9:10]
	v_mov_b32_e32 v10, v8
	s_or_b64 s[20:21], vcc, s[20:21]
	v_mov_b32_e32 v9, v7
	s_andn2_b64 exec, exec, s[20:21]
	s_cbranch_execnz .LBB4_14
.LBB4_15:                               ;   in Loop: Header=BB4_3 Depth=1
	s_or_b64 exec, exec, s[18:19]
	global_load_dwordx2 v[3:4], v2, s[2:3] offset:16
	s_mov_b64 s[20:21], exec
	v_mbcnt_lo_u32_b32 v1, s20, 0
	v_mbcnt_hi_u32_b32 v1, s21, v1
	v_cmp_eq_u32_e32 vcc, 0, v1
	s_and_saveexec_b64 s[18:19], vcc
	s_cbranch_execz .LBB4_17
; %bb.16:                               ;   in Loop: Header=BB4_3 Depth=1
	s_bcnt1_i32_b64 s20, s[20:21]
	v_mov_b32_e32 v1, s20
	s_waitcnt vmcnt(0)
	global_atomic_add_x2 v[3:4], v[1:2], off offset:8
.LBB4_17:                               ;   in Loop: Header=BB4_3 Depth=1
	s_or_b64 exec, exec, s[18:19]
	s_waitcnt vmcnt(0)
	global_load_dwordx2 v[7:8], v[3:4], off offset:16
	s_waitcnt vmcnt(0)
	v_cmp_eq_u64_e32 vcc, 0, v[7:8]
	s_cbranch_vccnz .LBB4_19
; %bb.18:                               ;   in Loop: Header=BB4_3 Depth=1
	global_load_dword v1, v[3:4], off offset:24
	s_waitcnt vmcnt(0)
	v_readfirstlane_b32 s18, v1
	s_and_b32 m0, s18, 0xffffff
	global_store_dwordx2 v[7:8], v[1:2], off
	s_sendmsg sendmsg(MSG_INTERRUPT)
.LBB4_19:                               ;   in Loop: Header=BB4_3 Depth=1
	s_or_b64 exec, exec, s[16:17]
	v_add_co_u32_e32 v3, vcc, v13, v43
	v_addc_co_u32_e32 v4, vcc, 0, v14, vcc
	s_branch .LBB4_23
.LBB4_20:                               ;   in Loop: Header=BB4_23 Depth=2
	s_or_b64 exec, exec, s[16:17]
	v_readfirstlane_b32 s16, v1
	s_cmp_eq_u32 s16, 0
	s_cbranch_scc1 .LBB4_22
; %bb.21:                               ;   in Loop: Header=BB4_23 Depth=2
	s_sleep 1
	s_cbranch_execnz .LBB4_23
	s_branch .LBB4_25
.LBB4_22:                               ;   in Loop: Header=BB4_3 Depth=1
	s_branch .LBB4_25
.LBB4_23:                               ;   Parent Loop BB4_3 Depth=1
                                        ; =>  This Inner Loop Header: Depth=2
	v_mov_b32_e32 v1, 1
	s_and_saveexec_b64 s[16:17], s[0:1]
	s_cbranch_execz .LBB4_20
; %bb.24:                               ;   in Loop: Header=BB4_23 Depth=2
	global_load_dword v1, v[11:12], off offset:20 glc
	s_waitcnt vmcnt(0)
	buffer_wbinvl1_vol
	v_and_b32_e32 v1, 1, v1
	s_branch .LBB4_20
.LBB4_25:                               ;   in Loop: Header=BB4_3 Depth=1
	global_load_dwordx2 v[7:8], v[3:4], off
	s_and_saveexec_b64 s[16:17], s[0:1]
	s_cbranch_execz .LBB4_29
; %bb.26:                               ;   in Loop: Header=BB4_3 Depth=1
	global_load_dwordx2 v[3:4], v2, s[2:3] offset:40
	global_load_dwordx2 v[13:14], v2, s[2:3] offset:24 glc
	global_load_dwordx2 v[9:10], v2, s[2:3]
	s_waitcnt vmcnt(2)
	v_readfirstlane_b32 s18, v3
	v_readfirstlane_b32 s19, v4
	s_add_u32 s20, s18, 1
	s_addc_u32 s21, s19, 0
	s_add_u32 s0, s20, s14
	s_addc_u32 s1, s21, s15
	s_cmp_eq_u64 s[0:1], 0
	s_cselect_b32 s1, s21, s1
	s_cselect_b32 s0, s20, s0
	s_and_b64 s[14:15], s[0:1], s[18:19]
	s_mul_i32 s15, s15, 24
	s_mul_hi_u32 s18, s14, 24
	s_mul_i32 s14, s14, 24
	s_add_i32 s15, s18, s15
	v_mov_b32_e32 v1, s15
	s_waitcnt vmcnt(0)
	v_add_co_u32_e32 v3, vcc, s14, v9
	v_addc_co_u32_e32 v4, vcc, v10, v1, vcc
	v_mov_b32_e32 v11, s0
	global_store_dwordx2 v[3:4], v[13:14], off
	v_mov_b32_e32 v12, s1
	s_waitcnt vmcnt(0)
	global_atomic_cmpswap_x2 v[11:12], v2, v[11:14], s[2:3] offset:24 glc
	s_waitcnt vmcnt(0)
	v_cmp_ne_u64_e32 vcc, v[11:12], v[13:14]
	s_and_b64 exec, exec, vcc
	s_cbranch_execz .LBB4_29
; %bb.27:                               ;   in Loop: Header=BB4_3 Depth=1
	s_mov_b64 s[14:15], 0
.LBB4_28:                               ;   Parent Loop BB4_3 Depth=1
                                        ; =>  This Inner Loop Header: Depth=2
	s_sleep 1
	global_store_dwordx2 v[3:4], v[11:12], off
	v_mov_b32_e32 v9, s0
	v_mov_b32_e32 v10, s1
	s_waitcnt vmcnt(0)
	global_atomic_cmpswap_x2 v[9:10], v2, v[9:12], s[2:3] offset:24 glc
	s_waitcnt vmcnt(0)
	v_cmp_eq_u64_e32 vcc, v[9:10], v[11:12]
	v_mov_b32_e32 v12, v10
	s_or_b64 s[14:15], vcc, s[14:15]
	v_mov_b32_e32 v11, v9
	s_andn2_b64 exec, exec, s[14:15]
	s_cbranch_execnz .LBB4_28
.LBB4_29:                               ;   in Loop: Header=BB4_3 Depth=1
	s_or_b64 exec, exec, s[16:17]
	s_and_b64 vcc, exec, s[6:7]
	s_cbranch_vccz .LBB4_201
; %bb.30:                               ;   in Loop: Header=BB4_3 Depth=1
	s_waitcnt vmcnt(0)
	v_and_b32_e32 v33, 2, v7
	v_and_b32_e32 v11, -3, v7
	v_mov_b32_e32 v12, v8
	s_mov_b64 s[16:17], 6
	s_getpc_b64 s[14:15]
	s_add_u32 s14, s14, .str.7@rel32@lo+4
	s_addc_u32 s15, s15, .str.7@rel32@hi+12
	s_branch .LBB4_32
.LBB4_31:                               ;   in Loop: Header=BB4_32 Depth=2
	s_or_b64 exec, exec, s[22:23]
	s_sub_u32 s16, s16, s18
	s_subb_u32 s17, s17, s19
	s_add_u32 s14, s14, s18
	s_addc_u32 s15, s15, s19
	s_cmp_lg_u64 s[16:17], 0
	s_cbranch_scc0 .LBB4_114
.LBB4_32:                               ;   Parent Loop BB4_3 Depth=1
                                        ; =>  This Loop Header: Depth=2
                                        ;       Child Loop BB4_35 Depth 3
                                        ;       Child Loop BB4_43 Depth 3
	;; [unrolled: 1-line block ×11, first 2 shown]
	v_cmp_lt_u64_e64 s[0:1], s[16:17], 56
	v_cmp_gt_u64_e64 s[20:21], s[16:17], 7
	s_and_b64 s[0:1], s[0:1], exec
	s_cselect_b32 s19, s17, 0
	s_cselect_b32 s18, s16, 56
	s_add_u32 s0, s14, 8
	s_addc_u32 s1, s15, 0
	s_and_b64 vcc, exec, s[20:21]
	s_cbranch_vccnz .LBB4_36
; %bb.33:                               ;   in Loop: Header=BB4_32 Depth=2
	s_cmp_eq_u64 s[16:17], 0
	s_cbranch_scc1 .LBB4_37
; %bb.34:                               ;   in Loop: Header=BB4_32 Depth=2
	v_mov_b32_e32 v13, 0
	s_lshl_b64 s[0:1], s[18:19], 3
	s_mov_b64 s[20:21], 0
	v_mov_b32_e32 v14, 0
	s_mov_b64 s[22:23], s[14:15]
.LBB4_35:                               ;   Parent Loop BB4_3 Depth=1
                                        ;     Parent Loop BB4_32 Depth=2
                                        ; =>    This Inner Loop Header: Depth=3
	global_load_ubyte v1, v2, s[22:23]
	s_waitcnt vmcnt(0)
	v_and_b32_e32 v1, 0xffff, v1
	v_lshlrev_b64 v[3:4], s20, v[1:2]
	s_add_u32 s20, s20, 8
	s_addc_u32 s21, s21, 0
	s_add_u32 s22, s22, 1
	s_addc_u32 s23, s23, 0
	v_or_b32_e32 v13, v3, v13
	s_cmp_lg_u32 s0, s20
	v_or_b32_e32 v14, v4, v14
	s_cbranch_scc1 .LBB4_35
	s_branch .LBB4_38
.LBB4_36:                               ;   in Loop: Header=BB4_32 Depth=2
	s_mov_b32 s24, 0
	s_branch .LBB4_39
.LBB4_37:                               ;   in Loop: Header=BB4_32 Depth=2
	v_mov_b32_e32 v13, 0
	v_mov_b32_e32 v14, 0
.LBB4_38:                               ;   in Loop: Header=BB4_32 Depth=2
	s_mov_b64 s[0:1], s[14:15]
	s_mov_b32 s24, 0
	s_cbranch_execnz .LBB4_40
.LBB4_39:                               ;   in Loop: Header=BB4_32 Depth=2
	global_load_dwordx2 v[13:14], v2, s[14:15]
	s_add_i32 s24, s18, -8
.LBB4_40:                               ;   in Loop: Header=BB4_32 Depth=2
	s_add_u32 s20, s0, 8
	s_addc_u32 s21, s1, 0
	s_cmp_gt_u32 s24, 7
	s_cbranch_scc1 .LBB4_44
; %bb.41:                               ;   in Loop: Header=BB4_32 Depth=2
	s_cmp_eq_u32 s24, 0
	s_cbranch_scc1 .LBB4_45
; %bb.42:                               ;   in Loop: Header=BB4_32 Depth=2
	v_mov_b32_e32 v15, 0
	s_mov_b64 s[20:21], 0
	v_mov_b32_e32 v16, 0
	s_mov_b64 s[22:23], 0
.LBB4_43:                               ;   Parent Loop BB4_3 Depth=1
                                        ;     Parent Loop BB4_32 Depth=2
                                        ; =>    This Inner Loop Header: Depth=3
	s_add_u32 s26, s0, s22
	s_addc_u32 s27, s1, s23
	global_load_ubyte v1, v2, s[26:27]
	s_add_u32 s22, s22, 1
	s_addc_u32 s23, s23, 0
	s_waitcnt vmcnt(0)
	v_and_b32_e32 v1, 0xffff, v1
	v_lshlrev_b64 v[3:4], s20, v[1:2]
	s_add_u32 s20, s20, 8
	s_addc_u32 s21, s21, 0
	v_or_b32_e32 v15, v3, v15
	s_cmp_lg_u32 s24, s22
	v_or_b32_e32 v16, v4, v16
	s_cbranch_scc1 .LBB4_43
	s_branch .LBB4_46
.LBB4_44:                               ;   in Loop: Header=BB4_32 Depth=2
                                        ; implicit-def: $vgpr15_vgpr16
	s_mov_b32 s25, 0
	s_branch .LBB4_47
.LBB4_45:                               ;   in Loop: Header=BB4_32 Depth=2
	v_mov_b32_e32 v15, 0
	v_mov_b32_e32 v16, 0
.LBB4_46:                               ;   in Loop: Header=BB4_32 Depth=2
	s_mov_b64 s[20:21], s[0:1]
	s_mov_b32 s25, 0
	s_cbranch_execnz .LBB4_48
.LBB4_47:                               ;   in Loop: Header=BB4_32 Depth=2
	global_load_dwordx2 v[15:16], v2, s[0:1]
	s_add_i32 s25, s24, -8
.LBB4_48:                               ;   in Loop: Header=BB4_32 Depth=2
	s_add_u32 s0, s20, 8
	s_addc_u32 s1, s21, 0
	s_cmp_gt_u32 s25, 7
	s_cbranch_scc1 .LBB4_52
; %bb.49:                               ;   in Loop: Header=BB4_32 Depth=2
	s_cmp_eq_u32 s25, 0
	s_cbranch_scc1 .LBB4_53
; %bb.50:                               ;   in Loop: Header=BB4_32 Depth=2
	v_mov_b32_e32 v17, 0
	s_mov_b64 s[0:1], 0
	v_mov_b32_e32 v18, 0
	s_mov_b64 s[22:23], 0
.LBB4_51:                               ;   Parent Loop BB4_3 Depth=1
                                        ;     Parent Loop BB4_32 Depth=2
                                        ; =>    This Inner Loop Header: Depth=3
	s_add_u32 s26, s20, s22
	s_addc_u32 s27, s21, s23
	global_load_ubyte v1, v2, s[26:27]
	s_add_u32 s22, s22, 1
	s_addc_u32 s23, s23, 0
	s_waitcnt vmcnt(0)
	v_and_b32_e32 v1, 0xffff, v1
	v_lshlrev_b64 v[3:4], s0, v[1:2]
	s_add_u32 s0, s0, 8
	s_addc_u32 s1, s1, 0
	v_or_b32_e32 v17, v3, v17
	s_cmp_lg_u32 s25, s22
	v_or_b32_e32 v18, v4, v18
	s_cbranch_scc1 .LBB4_51
	s_branch .LBB4_54
.LBB4_52:                               ;   in Loop: Header=BB4_32 Depth=2
	s_mov_b32 s24, 0
	s_branch .LBB4_55
.LBB4_53:                               ;   in Loop: Header=BB4_32 Depth=2
	v_mov_b32_e32 v17, 0
	v_mov_b32_e32 v18, 0
.LBB4_54:                               ;   in Loop: Header=BB4_32 Depth=2
	s_mov_b64 s[0:1], s[20:21]
	s_mov_b32 s24, 0
	s_cbranch_execnz .LBB4_56
.LBB4_55:                               ;   in Loop: Header=BB4_32 Depth=2
	global_load_dwordx2 v[17:18], v2, s[20:21]
	s_add_i32 s24, s25, -8
.LBB4_56:                               ;   in Loop: Header=BB4_32 Depth=2
	s_add_u32 s20, s0, 8
	s_addc_u32 s21, s1, 0
	s_cmp_gt_u32 s24, 7
	s_cbranch_scc1 .LBB4_60
; %bb.57:                               ;   in Loop: Header=BB4_32 Depth=2
	s_cmp_eq_u32 s24, 0
	s_cbranch_scc1 .LBB4_61
; %bb.58:                               ;   in Loop: Header=BB4_32 Depth=2
	v_mov_b32_e32 v19, 0
	s_mov_b64 s[20:21], 0
	v_mov_b32_e32 v20, 0
	s_mov_b64 s[22:23], 0
.LBB4_59:                               ;   Parent Loop BB4_3 Depth=1
                                        ;     Parent Loop BB4_32 Depth=2
                                        ; =>    This Inner Loop Header: Depth=3
	s_add_u32 s26, s0, s22
	s_addc_u32 s27, s1, s23
	global_load_ubyte v1, v2, s[26:27]
	s_add_u32 s22, s22, 1
	s_addc_u32 s23, s23, 0
	s_waitcnt vmcnt(0)
	v_and_b32_e32 v1, 0xffff, v1
	v_lshlrev_b64 v[3:4], s20, v[1:2]
	s_add_u32 s20, s20, 8
	s_addc_u32 s21, s21, 0
	v_or_b32_e32 v19, v3, v19
	s_cmp_lg_u32 s24, s22
	v_or_b32_e32 v20, v4, v20
	s_cbranch_scc1 .LBB4_59
	s_branch .LBB4_62
.LBB4_60:                               ;   in Loop: Header=BB4_32 Depth=2
                                        ; implicit-def: $vgpr19_vgpr20
	s_mov_b32 s25, 0
	s_branch .LBB4_63
.LBB4_61:                               ;   in Loop: Header=BB4_32 Depth=2
	v_mov_b32_e32 v19, 0
	v_mov_b32_e32 v20, 0
.LBB4_62:                               ;   in Loop: Header=BB4_32 Depth=2
	s_mov_b64 s[20:21], s[0:1]
	s_mov_b32 s25, 0
	s_cbranch_execnz .LBB4_64
.LBB4_63:                               ;   in Loop: Header=BB4_32 Depth=2
	global_load_dwordx2 v[19:20], v2, s[0:1]
	s_add_i32 s25, s24, -8
.LBB4_64:                               ;   in Loop: Header=BB4_32 Depth=2
	s_add_u32 s0, s20, 8
	s_addc_u32 s1, s21, 0
	s_cmp_gt_u32 s25, 7
	s_cbranch_scc1 .LBB4_68
; %bb.65:                               ;   in Loop: Header=BB4_32 Depth=2
	s_cmp_eq_u32 s25, 0
	s_cbranch_scc1 .LBB4_69
; %bb.66:                               ;   in Loop: Header=BB4_32 Depth=2
	v_mov_b32_e32 v21, 0
	s_mov_b64 s[0:1], 0
	v_mov_b32_e32 v22, 0
	s_mov_b64 s[22:23], 0
.LBB4_67:                               ;   Parent Loop BB4_3 Depth=1
                                        ;     Parent Loop BB4_32 Depth=2
                                        ; =>    This Inner Loop Header: Depth=3
	s_add_u32 s26, s20, s22
	s_addc_u32 s27, s21, s23
	global_load_ubyte v1, v2, s[26:27]
	s_add_u32 s22, s22, 1
	s_addc_u32 s23, s23, 0
	s_waitcnt vmcnt(0)
	v_and_b32_e32 v1, 0xffff, v1
	v_lshlrev_b64 v[3:4], s0, v[1:2]
	s_add_u32 s0, s0, 8
	s_addc_u32 s1, s1, 0
	v_or_b32_e32 v21, v3, v21
	s_cmp_lg_u32 s25, s22
	v_or_b32_e32 v22, v4, v22
	s_cbranch_scc1 .LBB4_67
	s_branch .LBB4_70
.LBB4_68:                               ;   in Loop: Header=BB4_32 Depth=2
	s_mov_b32 s24, 0
	s_branch .LBB4_71
.LBB4_69:                               ;   in Loop: Header=BB4_32 Depth=2
	v_mov_b32_e32 v21, 0
	v_mov_b32_e32 v22, 0
.LBB4_70:                               ;   in Loop: Header=BB4_32 Depth=2
	s_mov_b64 s[0:1], s[20:21]
	s_mov_b32 s24, 0
	s_cbranch_execnz .LBB4_72
.LBB4_71:                               ;   in Loop: Header=BB4_32 Depth=2
	global_load_dwordx2 v[21:22], v2, s[20:21]
	s_add_i32 s24, s25, -8
.LBB4_72:                               ;   in Loop: Header=BB4_32 Depth=2
	s_add_u32 s20, s0, 8
	s_addc_u32 s21, s1, 0
	s_cmp_gt_u32 s24, 7
	s_cbranch_scc1 .LBB4_76
; %bb.73:                               ;   in Loop: Header=BB4_32 Depth=2
	s_cmp_eq_u32 s24, 0
	s_cbranch_scc1 .LBB4_77
; %bb.74:                               ;   in Loop: Header=BB4_32 Depth=2
	v_mov_b32_e32 v23, 0
	s_mov_b64 s[20:21], 0
	v_mov_b32_e32 v24, 0
	s_mov_b64 s[22:23], 0
.LBB4_75:                               ;   Parent Loop BB4_3 Depth=1
                                        ;     Parent Loop BB4_32 Depth=2
                                        ; =>    This Inner Loop Header: Depth=3
	s_add_u32 s26, s0, s22
	s_addc_u32 s27, s1, s23
	global_load_ubyte v1, v2, s[26:27]
	s_add_u32 s22, s22, 1
	s_addc_u32 s23, s23, 0
	s_waitcnt vmcnt(0)
	v_and_b32_e32 v1, 0xffff, v1
	v_lshlrev_b64 v[3:4], s20, v[1:2]
	s_add_u32 s20, s20, 8
	s_addc_u32 s21, s21, 0
	v_or_b32_e32 v23, v3, v23
	s_cmp_lg_u32 s24, s22
	v_or_b32_e32 v24, v4, v24
	s_cbranch_scc1 .LBB4_75
	s_branch .LBB4_78
.LBB4_76:                               ;   in Loop: Header=BB4_32 Depth=2
                                        ; implicit-def: $vgpr23_vgpr24
	s_mov_b32 s25, 0
	s_branch .LBB4_79
.LBB4_77:                               ;   in Loop: Header=BB4_32 Depth=2
	v_mov_b32_e32 v23, 0
	v_mov_b32_e32 v24, 0
.LBB4_78:                               ;   in Loop: Header=BB4_32 Depth=2
	s_mov_b64 s[20:21], s[0:1]
	s_mov_b32 s25, 0
	s_cbranch_execnz .LBB4_80
.LBB4_79:                               ;   in Loop: Header=BB4_32 Depth=2
	global_load_dwordx2 v[23:24], v2, s[0:1]
	s_add_i32 s25, s24, -8
.LBB4_80:                               ;   in Loop: Header=BB4_32 Depth=2
	s_cmp_gt_u32 s25, 7
	s_cbranch_scc1 .LBB4_84
; %bb.81:                               ;   in Loop: Header=BB4_32 Depth=2
	s_cmp_eq_u32 s25, 0
	s_cbranch_scc1 .LBB4_85
; %bb.82:                               ;   in Loop: Header=BB4_32 Depth=2
	v_mov_b32_e32 v25, 0
	s_mov_b64 s[0:1], 0
	v_mov_b32_e32 v26, 0
	s_mov_b64 s[22:23], s[20:21]
.LBB4_83:                               ;   Parent Loop BB4_3 Depth=1
                                        ;     Parent Loop BB4_32 Depth=2
                                        ; =>    This Inner Loop Header: Depth=3
	global_load_ubyte v1, v2, s[22:23]
	s_add_i32 s25, s25, -1
	s_waitcnt vmcnt(0)
	v_and_b32_e32 v1, 0xffff, v1
	v_lshlrev_b64 v[3:4], s0, v[1:2]
	s_add_u32 s0, s0, 8
	s_addc_u32 s1, s1, 0
	s_add_u32 s22, s22, 1
	s_addc_u32 s23, s23, 0
	v_or_b32_e32 v25, v3, v25
	s_cmp_lg_u32 s25, 0
	v_or_b32_e32 v26, v4, v26
	s_cbranch_scc1 .LBB4_83
	s_branch .LBB4_86
.LBB4_84:                               ;   in Loop: Header=BB4_32 Depth=2
	s_branch .LBB4_87
.LBB4_85:                               ;   in Loop: Header=BB4_32 Depth=2
	v_mov_b32_e32 v25, 0
	v_mov_b32_e32 v26, 0
.LBB4_86:                               ;   in Loop: Header=BB4_32 Depth=2
	s_cbranch_execnz .LBB4_88
.LBB4_87:                               ;   in Loop: Header=BB4_32 Depth=2
	global_load_dwordx2 v[25:26], v2, s[20:21]
.LBB4_88:                               ;   in Loop: Header=BB4_32 Depth=2
	v_readfirstlane_b32 s0, v40
	v_mov_b32_e32 v3, 0
	v_mov_b32_e32 v4, 0
	v_cmp_eq_u32_e64 s[0:1], s0, v40
	s_and_saveexec_b64 s[20:21], s[0:1]
	s_cbranch_execz .LBB4_94
; %bb.89:                               ;   in Loop: Header=BB4_32 Depth=2
	global_load_dwordx2 v[29:30], v2, s[2:3] offset:24 glc
	s_waitcnt vmcnt(0)
	buffer_wbinvl1_vol
	global_load_dwordx2 v[3:4], v2, s[2:3] offset:40
	global_load_dwordx2 v[9:10], v2, s[2:3]
	s_waitcnt vmcnt(1)
	v_and_b32_e32 v1, v3, v29
	v_and_b32_e32 v3, v4, v30
	v_mul_lo_u32 v3, v3, 24
	v_mul_hi_u32 v4, v1, 24
	v_mul_lo_u32 v1, v1, 24
	v_add_u32_e32 v4, v4, v3
	s_waitcnt vmcnt(0)
	v_add_co_u32_e32 v3, vcc, v9, v1
	v_addc_co_u32_e32 v4, vcc, v10, v4, vcc
	global_load_dwordx2 v[27:28], v[3:4], off glc
	s_waitcnt vmcnt(0)
	global_atomic_cmpswap_x2 v[3:4], v2, v[27:30], s[2:3] offset:24 glc
	s_waitcnt vmcnt(0)
	buffer_wbinvl1_vol
	v_cmp_ne_u64_e32 vcc, v[3:4], v[29:30]
	s_and_saveexec_b64 s[22:23], vcc
	s_cbranch_execz .LBB4_93
; %bb.90:                               ;   in Loop: Header=BB4_32 Depth=2
	s_mov_b64 s[24:25], 0
.LBB4_91:                               ;   Parent Loop BB4_3 Depth=1
                                        ;     Parent Loop BB4_32 Depth=2
                                        ; =>    This Inner Loop Header: Depth=3
	s_sleep 1
	global_load_dwordx2 v[9:10], v2, s[2:3] offset:40
	global_load_dwordx2 v[27:28], v2, s[2:3]
	v_mov_b32_e32 v30, v4
	v_mov_b32_e32 v29, v3
	s_waitcnt vmcnt(1)
	v_and_b32_e32 v1, v9, v29
	s_waitcnt vmcnt(0)
	v_mad_u64_u32 v[3:4], s[26:27], v1, 24, v[27:28]
	v_and_b32_e32 v9, v10, v30
	v_mov_b32_e32 v1, v4
	v_mad_u64_u32 v[9:10], s[26:27], v9, 24, v[1:2]
	v_mov_b32_e32 v4, v9
	global_load_dwordx2 v[27:28], v[3:4], off glc
	s_waitcnt vmcnt(0)
	global_atomic_cmpswap_x2 v[3:4], v2, v[27:30], s[2:3] offset:24 glc
	s_waitcnt vmcnt(0)
	buffer_wbinvl1_vol
	v_cmp_eq_u64_e32 vcc, v[3:4], v[29:30]
	s_or_b64 s[24:25], vcc, s[24:25]
	s_andn2_b64 exec, exec, s[24:25]
	s_cbranch_execnz .LBB4_91
; %bb.92:                               ;   in Loop: Header=BB4_32 Depth=2
	s_or_b64 exec, exec, s[24:25]
.LBB4_93:                               ;   in Loop: Header=BB4_32 Depth=2
	s_or_b64 exec, exec, s[22:23]
.LBB4_94:                               ;   in Loop: Header=BB4_32 Depth=2
	s_or_b64 exec, exec, s[20:21]
	global_load_dwordx2 v[9:10], v2, s[2:3] offset:40
	global_load_dwordx4 v[27:30], v2, s[2:3]
	v_readfirstlane_b32 s21, v4
	v_readfirstlane_b32 s20, v3
	s_mov_b64 s[22:23], exec
	s_waitcnt vmcnt(1)
	v_readfirstlane_b32 s24, v9
	v_readfirstlane_b32 s25, v10
	s_and_b64 s[24:25], s[24:25], s[20:21]
	s_mul_i32 s26, s25, 24
	s_mul_hi_u32 s27, s24, 24
	s_mul_i32 s33, s24, 24
	s_add_i32 s26, s27, s26
	v_mov_b32_e32 v1, s26
	s_waitcnt vmcnt(0)
	v_add_co_u32_e32 v31, vcc, s33, v27
	v_addc_co_u32_e32 v32, vcc, v28, v1, vcc
	s_and_saveexec_b64 s[26:27], s[0:1]
	s_cbranch_execz .LBB4_96
; %bb.95:                               ;   in Loop: Header=BB4_32 Depth=2
	v_mov_b32_e32 v3, s22
	v_mov_b32_e32 v4, s23
	global_store_dwordx4 v[31:32], v[3:6], off offset:8
.LBB4_96:                               ;   in Loop: Header=BB4_32 Depth=2
	s_or_b64 exec, exec, s[26:27]
	s_lshl_b64 s[22:23], s[24:25], 12
	v_mov_b32_e32 v1, s23
	v_add_co_u32_e32 v29, vcc, s22, v29
	v_addc_co_u32_e32 v30, vcc, v30, v1, vcc
	v_cmp_lt_u64_e64 vcc, s[16:17], 57
	s_lshl_b32 s22, s18, 2
	v_cndmask_b32_e32 v1, 0, v33, vcc
	s_add_i32 s22, s22, 28
	v_and_b32_e32 v3, 0xffffff1f, v11
	s_and_b32 s22, s22, 0x1e0
	v_or_b32_e32 v1, v3, v1
	v_or_b32_e32 v11, s22, v1
	v_readfirstlane_b32 s22, v29
	v_readfirstlane_b32 s23, v30
	s_nop 4
	global_store_dwordx4 v43, v[11:14], s[22:23]
	global_store_dwordx4 v43, v[15:18], s[22:23] offset:16
	global_store_dwordx4 v43, v[19:22], s[22:23] offset:32
	;; [unrolled: 1-line block ×3, first 2 shown]
	s_and_saveexec_b64 s[22:23], s[0:1]
	s_cbranch_execz .LBB4_104
; %bb.97:                               ;   in Loop: Header=BB4_32 Depth=2
	global_load_dwordx2 v[13:14], v2, s[2:3] offset:32 glc
	global_load_dwordx2 v[3:4], v2, s[2:3] offset:40
	v_mov_b32_e32 v11, s20
	v_mov_b32_e32 v12, s21
	s_waitcnt vmcnt(0)
	v_readfirstlane_b32 s24, v3
	v_readfirstlane_b32 s25, v4
	s_and_b64 s[24:25], s[24:25], s[20:21]
	s_mul_i32 s25, s25, 24
	s_mul_hi_u32 s26, s24, 24
	s_mul_i32 s24, s24, 24
	s_add_i32 s25, s26, s25
	v_mov_b32_e32 v1, s25
	v_add_co_u32_e32 v3, vcc, s24, v27
	v_addc_co_u32_e32 v4, vcc, v28, v1, vcc
	global_store_dwordx2 v[3:4], v[13:14], off
	s_waitcnt vmcnt(0)
	global_atomic_cmpswap_x2 v[11:12], v2, v[11:14], s[2:3] offset:32 glc
	s_waitcnt vmcnt(0)
	v_cmp_ne_u64_e32 vcc, v[11:12], v[13:14]
	s_and_saveexec_b64 s[24:25], vcc
	s_cbranch_execz .LBB4_100
; %bb.98:                               ;   in Loop: Header=BB4_32 Depth=2
	s_mov_b64 s[26:27], 0
.LBB4_99:                               ;   Parent Loop BB4_3 Depth=1
                                        ;     Parent Loop BB4_32 Depth=2
                                        ; =>    This Inner Loop Header: Depth=3
	s_sleep 1
	global_store_dwordx2 v[3:4], v[11:12], off
	v_mov_b32_e32 v9, s20
	v_mov_b32_e32 v10, s21
	s_waitcnt vmcnt(0)
	global_atomic_cmpswap_x2 v[9:10], v2, v[9:12], s[2:3] offset:32 glc
	s_waitcnt vmcnt(0)
	v_cmp_eq_u64_e32 vcc, v[9:10], v[11:12]
	v_mov_b32_e32 v12, v10
	s_or_b64 s[26:27], vcc, s[26:27]
	v_mov_b32_e32 v11, v9
	s_andn2_b64 exec, exec, s[26:27]
	s_cbranch_execnz .LBB4_99
.LBB4_100:                              ;   in Loop: Header=BB4_32 Depth=2
	s_or_b64 exec, exec, s[24:25]
	global_load_dwordx2 v[3:4], v2, s[2:3] offset:16
	s_mov_b64 s[26:27], exec
	v_mbcnt_lo_u32_b32 v1, s26, 0
	v_mbcnt_hi_u32_b32 v1, s27, v1
	v_cmp_eq_u32_e32 vcc, 0, v1
	s_and_saveexec_b64 s[24:25], vcc
	s_cbranch_execz .LBB4_102
; %bb.101:                              ;   in Loop: Header=BB4_32 Depth=2
	s_bcnt1_i32_b64 s26, s[26:27]
	v_mov_b32_e32 v1, s26
	s_waitcnt vmcnt(0)
	global_atomic_add_x2 v[3:4], v[1:2], off offset:8
.LBB4_102:                              ;   in Loop: Header=BB4_32 Depth=2
	s_or_b64 exec, exec, s[24:25]
	s_waitcnt vmcnt(0)
	global_load_dwordx2 v[9:10], v[3:4], off offset:16
	s_waitcnt vmcnt(0)
	v_cmp_eq_u64_e32 vcc, 0, v[9:10]
	s_cbranch_vccnz .LBB4_104
; %bb.103:                              ;   in Loop: Header=BB4_32 Depth=2
	global_load_dword v1, v[3:4], off offset:24
	s_waitcnt vmcnt(0)
	v_readfirstlane_b32 s24, v1
	s_and_b32 m0, s24, 0xffffff
	global_store_dwordx2 v[9:10], v[1:2], off
	s_sendmsg sendmsg(MSG_INTERRUPT)
.LBB4_104:                              ;   in Loop: Header=BB4_32 Depth=2
	s_or_b64 exec, exec, s[22:23]
	v_add_co_u32_e32 v3, vcc, v29, v43
	v_addc_co_u32_e32 v4, vcc, 0, v30, vcc
	s_branch .LBB4_108
.LBB4_105:                              ;   in Loop: Header=BB4_108 Depth=3
	s_or_b64 exec, exec, s[22:23]
	v_readfirstlane_b32 s22, v1
	s_cmp_eq_u32 s22, 0
	s_cbranch_scc1 .LBB4_107
; %bb.106:                              ;   in Loop: Header=BB4_108 Depth=3
	s_sleep 1
	s_cbranch_execnz .LBB4_108
	s_branch .LBB4_110
.LBB4_107:                              ;   in Loop: Header=BB4_32 Depth=2
	s_branch .LBB4_110
.LBB4_108:                              ;   Parent Loop BB4_3 Depth=1
                                        ;     Parent Loop BB4_32 Depth=2
                                        ; =>    This Inner Loop Header: Depth=3
	v_mov_b32_e32 v1, 1
	s_and_saveexec_b64 s[22:23], s[0:1]
	s_cbranch_execz .LBB4_105
; %bb.109:                              ;   in Loop: Header=BB4_108 Depth=3
	global_load_dword v1, v[31:32], off offset:20 glc
	s_waitcnt vmcnt(0)
	buffer_wbinvl1_vol
	v_and_b32_e32 v1, 1, v1
	s_branch .LBB4_105
.LBB4_110:                              ;   in Loop: Header=BB4_32 Depth=2
	global_load_dwordx2 v[11:12], v[3:4], off
	s_and_saveexec_b64 s[22:23], s[0:1]
	s_cbranch_execz .LBB4_31
; %bb.111:                              ;   in Loop: Header=BB4_32 Depth=2
	global_load_dwordx2 v[3:4], v2, s[2:3] offset:40
	global_load_dwordx2 v[17:18], v2, s[2:3] offset:24 glc
	global_load_dwordx2 v[9:10], v2, s[2:3]
	s_waitcnt vmcnt(2)
	v_readfirstlane_b32 s24, v3
	v_readfirstlane_b32 s25, v4
	s_add_u32 s26, s24, 1
	s_addc_u32 s27, s25, 0
	s_add_u32 s0, s26, s20
	s_addc_u32 s1, s27, s21
	s_cmp_eq_u64 s[0:1], 0
	s_cselect_b32 s1, s27, s1
	s_cselect_b32 s0, s26, s0
	s_and_b64 s[20:21], s[0:1], s[24:25]
	s_mul_i32 s21, s21, 24
	s_mul_hi_u32 s24, s20, 24
	s_mul_i32 s20, s20, 24
	s_add_i32 s21, s24, s21
	v_mov_b32_e32 v1, s21
	s_waitcnt vmcnt(0)
	v_add_co_u32_e32 v3, vcc, s20, v9
	v_addc_co_u32_e32 v4, vcc, v10, v1, vcc
	v_mov_b32_e32 v15, s0
	global_store_dwordx2 v[3:4], v[17:18], off
	v_mov_b32_e32 v16, s1
	s_waitcnt vmcnt(0)
	global_atomic_cmpswap_x2 v[15:16], v2, v[15:18], s[2:3] offset:24 glc
	s_waitcnt vmcnt(0)
	v_cmp_ne_u64_e32 vcc, v[15:16], v[17:18]
	s_and_b64 exec, exec, vcc
	s_cbranch_execz .LBB4_31
; %bb.112:                              ;   in Loop: Header=BB4_32 Depth=2
	s_mov_b64 s[20:21], 0
.LBB4_113:                              ;   Parent Loop BB4_3 Depth=1
                                        ;     Parent Loop BB4_32 Depth=2
                                        ; =>    This Inner Loop Header: Depth=3
	s_sleep 1
	global_store_dwordx2 v[3:4], v[15:16], off
	v_mov_b32_e32 v13, s0
	v_mov_b32_e32 v14, s1
	s_waitcnt vmcnt(0)
	global_atomic_cmpswap_x2 v[9:10], v2, v[13:16], s[2:3] offset:24 glc
	s_waitcnt vmcnt(0)
	v_cmp_eq_u64_e32 vcc, v[9:10], v[15:16]
	v_mov_b32_e32 v16, v10
	s_or_b64 s[20:21], vcc, s[20:21]
	v_mov_b32_e32 v15, v9
	s_andn2_b64 exec, exec, s[20:21]
	s_cbranch_execnz .LBB4_113
	s_branch .LBB4_31
.LBB4_114:                              ;   in Loop: Header=BB4_3 Depth=1
.LBB4_115:                              ;   in Loop: Header=BB4_3 Depth=1
	s_and_b64 vcc, exec, s[12:13]
	s_cbranch_vccz .LBB4_229
.LBB4_116:                              ;   in Loop: Header=BB4_3 Depth=1
	s_waitcnt vmcnt(0)
	v_and_b32_e32 v31, 2, v11
	v_and_b32_e32 v7, -3, v11
	v_mov_b32_e32 v8, v12
	s_mov_b64 s[16:17], 45
	s_getpc_b64 s[14:15]
	s_add_u32 s14, s14, .str.6@rel32@lo+4
	s_addc_u32 s15, s15, .str.6@rel32@hi+12
	s_branch .LBB4_118
.LBB4_117:                              ;   in Loop: Header=BB4_118 Depth=2
	s_or_b64 exec, exec, s[22:23]
	s_sub_u32 s16, s16, s18
	s_subb_u32 s17, s17, s19
	s_add_u32 s14, s14, s18
	s_addc_u32 s15, s15, s19
	s_cmp_lg_u64 s[16:17], 0
	s_cbranch_scc0 .LBB4_200
.LBB4_118:                              ;   Parent Loop BB4_3 Depth=1
                                        ; =>  This Loop Header: Depth=2
                                        ;       Child Loop BB4_121 Depth 3
                                        ;       Child Loop BB4_129 Depth 3
	;; [unrolled: 1-line block ×11, first 2 shown]
	v_cmp_lt_u64_e64 s[0:1], s[16:17], 56
	v_cmp_gt_u64_e64 s[20:21], s[16:17], 7
	s_and_b64 s[0:1], s[0:1], exec
	s_cselect_b32 s19, s17, 0
	s_cselect_b32 s18, s16, 56
	s_add_u32 s0, s14, 8
	s_addc_u32 s1, s15, 0
	s_and_b64 vcc, exec, s[20:21]
	s_cbranch_vccnz .LBB4_122
; %bb.119:                              ;   in Loop: Header=BB4_118 Depth=2
	s_cmp_eq_u64 s[16:17], 0
	s_cbranch_scc1 .LBB4_123
; %bb.120:                              ;   in Loop: Header=BB4_118 Depth=2
	v_mov_b32_e32 v9, 0
	s_lshl_b64 s[0:1], s[18:19], 3
	s_mov_b64 s[20:21], 0
	v_mov_b32_e32 v10, 0
	s_mov_b64 s[22:23], s[14:15]
.LBB4_121:                              ;   Parent Loop BB4_3 Depth=1
                                        ;     Parent Loop BB4_118 Depth=2
                                        ; =>    This Inner Loop Header: Depth=3
	global_load_ubyte v1, v2, s[22:23]
	s_waitcnt vmcnt(0)
	v_and_b32_e32 v1, 0xffff, v1
	v_lshlrev_b64 v[3:4], s20, v[1:2]
	s_add_u32 s20, s20, 8
	s_addc_u32 s21, s21, 0
	s_add_u32 s22, s22, 1
	s_addc_u32 s23, s23, 0
	v_or_b32_e32 v9, v3, v9
	s_cmp_lg_u32 s0, s20
	v_or_b32_e32 v10, v4, v10
	s_cbranch_scc1 .LBB4_121
	s_branch .LBB4_124
.LBB4_122:                              ;   in Loop: Header=BB4_118 Depth=2
	s_mov_b32 s24, 0
	s_branch .LBB4_125
.LBB4_123:                              ;   in Loop: Header=BB4_118 Depth=2
	v_mov_b32_e32 v9, 0
	v_mov_b32_e32 v10, 0
.LBB4_124:                              ;   in Loop: Header=BB4_118 Depth=2
	s_mov_b64 s[0:1], s[14:15]
	s_mov_b32 s24, 0
	s_cbranch_execnz .LBB4_126
.LBB4_125:                              ;   in Loop: Header=BB4_118 Depth=2
	global_load_dwordx2 v[9:10], v2, s[14:15]
	s_add_i32 s24, s18, -8
.LBB4_126:                              ;   in Loop: Header=BB4_118 Depth=2
	s_add_u32 s20, s0, 8
	s_addc_u32 s21, s1, 0
	s_cmp_gt_u32 s24, 7
	s_cbranch_scc1 .LBB4_130
; %bb.127:                              ;   in Loop: Header=BB4_118 Depth=2
	s_cmp_eq_u32 s24, 0
	s_cbranch_scc1 .LBB4_131
; %bb.128:                              ;   in Loop: Header=BB4_118 Depth=2
	v_mov_b32_e32 v13, 0
	s_mov_b64 s[20:21], 0
	v_mov_b32_e32 v14, 0
	s_mov_b64 s[22:23], 0
.LBB4_129:                              ;   Parent Loop BB4_3 Depth=1
                                        ;     Parent Loop BB4_118 Depth=2
                                        ; =>    This Inner Loop Header: Depth=3
	s_add_u32 s26, s0, s22
	s_addc_u32 s27, s1, s23
	global_load_ubyte v1, v2, s[26:27]
	s_add_u32 s22, s22, 1
	s_addc_u32 s23, s23, 0
	s_waitcnt vmcnt(0)
	v_and_b32_e32 v1, 0xffff, v1
	v_lshlrev_b64 v[3:4], s20, v[1:2]
	s_add_u32 s20, s20, 8
	s_addc_u32 s21, s21, 0
	v_or_b32_e32 v13, v3, v13
	s_cmp_lg_u32 s24, s22
	v_or_b32_e32 v14, v4, v14
	s_cbranch_scc1 .LBB4_129
	s_branch .LBB4_132
.LBB4_130:                              ;   in Loop: Header=BB4_118 Depth=2
                                        ; implicit-def: $vgpr13_vgpr14
	s_mov_b32 s25, 0
	s_branch .LBB4_133
.LBB4_131:                              ;   in Loop: Header=BB4_118 Depth=2
	v_mov_b32_e32 v13, 0
	v_mov_b32_e32 v14, 0
.LBB4_132:                              ;   in Loop: Header=BB4_118 Depth=2
	s_mov_b64 s[20:21], s[0:1]
	s_mov_b32 s25, 0
	s_cbranch_execnz .LBB4_134
.LBB4_133:                              ;   in Loop: Header=BB4_118 Depth=2
	global_load_dwordx2 v[13:14], v2, s[0:1]
	s_add_i32 s25, s24, -8
.LBB4_134:                              ;   in Loop: Header=BB4_118 Depth=2
	s_add_u32 s0, s20, 8
	s_addc_u32 s1, s21, 0
	s_cmp_gt_u32 s25, 7
	s_cbranch_scc1 .LBB4_138
; %bb.135:                              ;   in Loop: Header=BB4_118 Depth=2
	s_cmp_eq_u32 s25, 0
	s_cbranch_scc1 .LBB4_139
; %bb.136:                              ;   in Loop: Header=BB4_118 Depth=2
	v_mov_b32_e32 v15, 0
	s_mov_b64 s[0:1], 0
	v_mov_b32_e32 v16, 0
	s_mov_b64 s[22:23], 0
.LBB4_137:                              ;   Parent Loop BB4_3 Depth=1
                                        ;     Parent Loop BB4_118 Depth=2
                                        ; =>    This Inner Loop Header: Depth=3
	s_add_u32 s26, s20, s22
	s_addc_u32 s27, s21, s23
	global_load_ubyte v1, v2, s[26:27]
	s_add_u32 s22, s22, 1
	s_addc_u32 s23, s23, 0
	s_waitcnt vmcnt(0)
	v_and_b32_e32 v1, 0xffff, v1
	v_lshlrev_b64 v[3:4], s0, v[1:2]
	s_add_u32 s0, s0, 8
	s_addc_u32 s1, s1, 0
	v_or_b32_e32 v15, v3, v15
	s_cmp_lg_u32 s25, s22
	v_or_b32_e32 v16, v4, v16
	s_cbranch_scc1 .LBB4_137
	s_branch .LBB4_140
.LBB4_138:                              ;   in Loop: Header=BB4_118 Depth=2
	s_mov_b32 s24, 0
	s_branch .LBB4_141
.LBB4_139:                              ;   in Loop: Header=BB4_118 Depth=2
	v_mov_b32_e32 v15, 0
	v_mov_b32_e32 v16, 0
.LBB4_140:                              ;   in Loop: Header=BB4_118 Depth=2
	s_mov_b64 s[0:1], s[20:21]
	s_mov_b32 s24, 0
	s_cbranch_execnz .LBB4_142
.LBB4_141:                              ;   in Loop: Header=BB4_118 Depth=2
	global_load_dwordx2 v[15:16], v2, s[20:21]
	s_add_i32 s24, s25, -8
.LBB4_142:                              ;   in Loop: Header=BB4_118 Depth=2
	s_add_u32 s20, s0, 8
	s_addc_u32 s21, s1, 0
	s_cmp_gt_u32 s24, 7
	s_cbranch_scc1 .LBB4_146
; %bb.143:                              ;   in Loop: Header=BB4_118 Depth=2
	s_cmp_eq_u32 s24, 0
	s_cbranch_scc1 .LBB4_147
; %bb.144:                              ;   in Loop: Header=BB4_118 Depth=2
	v_mov_b32_e32 v17, 0
	s_mov_b64 s[20:21], 0
	v_mov_b32_e32 v18, 0
	s_mov_b64 s[22:23], 0
.LBB4_145:                              ;   Parent Loop BB4_3 Depth=1
                                        ;     Parent Loop BB4_118 Depth=2
                                        ; =>    This Inner Loop Header: Depth=3
	s_add_u32 s26, s0, s22
	s_addc_u32 s27, s1, s23
	global_load_ubyte v1, v2, s[26:27]
	s_add_u32 s22, s22, 1
	s_addc_u32 s23, s23, 0
	s_waitcnt vmcnt(0)
	v_and_b32_e32 v1, 0xffff, v1
	v_lshlrev_b64 v[3:4], s20, v[1:2]
	s_add_u32 s20, s20, 8
	s_addc_u32 s21, s21, 0
	v_or_b32_e32 v17, v3, v17
	s_cmp_lg_u32 s24, s22
	v_or_b32_e32 v18, v4, v18
	s_cbranch_scc1 .LBB4_145
	s_branch .LBB4_148
.LBB4_146:                              ;   in Loop: Header=BB4_118 Depth=2
                                        ; implicit-def: $vgpr17_vgpr18
	s_mov_b32 s25, 0
	s_branch .LBB4_149
.LBB4_147:                              ;   in Loop: Header=BB4_118 Depth=2
	v_mov_b32_e32 v17, 0
	v_mov_b32_e32 v18, 0
.LBB4_148:                              ;   in Loop: Header=BB4_118 Depth=2
	s_mov_b64 s[20:21], s[0:1]
	s_mov_b32 s25, 0
	s_cbranch_execnz .LBB4_150
.LBB4_149:                              ;   in Loop: Header=BB4_118 Depth=2
	global_load_dwordx2 v[17:18], v2, s[0:1]
	s_add_i32 s25, s24, -8
.LBB4_150:                              ;   in Loop: Header=BB4_118 Depth=2
	s_add_u32 s0, s20, 8
	s_addc_u32 s1, s21, 0
	s_cmp_gt_u32 s25, 7
	s_cbranch_scc1 .LBB4_154
; %bb.151:                              ;   in Loop: Header=BB4_118 Depth=2
	s_cmp_eq_u32 s25, 0
	s_cbranch_scc1 .LBB4_155
; %bb.152:                              ;   in Loop: Header=BB4_118 Depth=2
	v_mov_b32_e32 v19, 0
	s_mov_b64 s[0:1], 0
	v_mov_b32_e32 v20, 0
	s_mov_b64 s[22:23], 0
.LBB4_153:                              ;   Parent Loop BB4_3 Depth=1
                                        ;     Parent Loop BB4_118 Depth=2
                                        ; =>    This Inner Loop Header: Depth=3
	s_add_u32 s26, s20, s22
	s_addc_u32 s27, s21, s23
	global_load_ubyte v1, v2, s[26:27]
	s_add_u32 s22, s22, 1
	s_addc_u32 s23, s23, 0
	s_waitcnt vmcnt(0)
	v_and_b32_e32 v1, 0xffff, v1
	v_lshlrev_b64 v[3:4], s0, v[1:2]
	s_add_u32 s0, s0, 8
	s_addc_u32 s1, s1, 0
	v_or_b32_e32 v19, v3, v19
	s_cmp_lg_u32 s25, s22
	v_or_b32_e32 v20, v4, v20
	s_cbranch_scc1 .LBB4_153
	s_branch .LBB4_156
.LBB4_154:                              ;   in Loop: Header=BB4_118 Depth=2
	s_mov_b32 s24, 0
	s_branch .LBB4_157
.LBB4_155:                              ;   in Loop: Header=BB4_118 Depth=2
	v_mov_b32_e32 v19, 0
	v_mov_b32_e32 v20, 0
.LBB4_156:                              ;   in Loop: Header=BB4_118 Depth=2
	s_mov_b64 s[0:1], s[20:21]
	s_mov_b32 s24, 0
	s_cbranch_execnz .LBB4_158
.LBB4_157:                              ;   in Loop: Header=BB4_118 Depth=2
	global_load_dwordx2 v[19:20], v2, s[20:21]
	s_add_i32 s24, s25, -8
.LBB4_158:                              ;   in Loop: Header=BB4_118 Depth=2
	s_add_u32 s20, s0, 8
	s_addc_u32 s21, s1, 0
	s_cmp_gt_u32 s24, 7
	s_cbranch_scc1 .LBB4_162
; %bb.159:                              ;   in Loop: Header=BB4_118 Depth=2
	s_cmp_eq_u32 s24, 0
	s_cbranch_scc1 .LBB4_163
; %bb.160:                              ;   in Loop: Header=BB4_118 Depth=2
	v_mov_b32_e32 v21, 0
	s_mov_b64 s[20:21], 0
	v_mov_b32_e32 v22, 0
	s_mov_b64 s[22:23], 0
.LBB4_161:                              ;   Parent Loop BB4_3 Depth=1
                                        ;     Parent Loop BB4_118 Depth=2
                                        ; =>    This Inner Loop Header: Depth=3
	s_add_u32 s26, s0, s22
	s_addc_u32 s27, s1, s23
	global_load_ubyte v1, v2, s[26:27]
	s_add_u32 s22, s22, 1
	s_addc_u32 s23, s23, 0
	s_waitcnt vmcnt(0)
	v_and_b32_e32 v1, 0xffff, v1
	v_lshlrev_b64 v[3:4], s20, v[1:2]
	s_add_u32 s20, s20, 8
	s_addc_u32 s21, s21, 0
	v_or_b32_e32 v21, v3, v21
	s_cmp_lg_u32 s24, s22
	v_or_b32_e32 v22, v4, v22
	s_cbranch_scc1 .LBB4_161
	s_branch .LBB4_164
.LBB4_162:                              ;   in Loop: Header=BB4_118 Depth=2
                                        ; implicit-def: $vgpr21_vgpr22
	s_mov_b32 s25, 0
	s_branch .LBB4_165
.LBB4_163:                              ;   in Loop: Header=BB4_118 Depth=2
	v_mov_b32_e32 v21, 0
	v_mov_b32_e32 v22, 0
.LBB4_164:                              ;   in Loop: Header=BB4_118 Depth=2
	s_mov_b64 s[20:21], s[0:1]
	s_mov_b32 s25, 0
	s_cbranch_execnz .LBB4_166
.LBB4_165:                              ;   in Loop: Header=BB4_118 Depth=2
	global_load_dwordx2 v[21:22], v2, s[0:1]
	s_add_i32 s25, s24, -8
.LBB4_166:                              ;   in Loop: Header=BB4_118 Depth=2
	s_cmp_gt_u32 s25, 7
	s_cbranch_scc1 .LBB4_170
; %bb.167:                              ;   in Loop: Header=BB4_118 Depth=2
	s_cmp_eq_u32 s25, 0
	s_cbranch_scc1 .LBB4_171
; %bb.168:                              ;   in Loop: Header=BB4_118 Depth=2
	v_mov_b32_e32 v23, 0
	s_mov_b64 s[0:1], 0
	v_mov_b32_e32 v24, 0
	s_mov_b64 s[22:23], s[20:21]
.LBB4_169:                              ;   Parent Loop BB4_3 Depth=1
                                        ;     Parent Loop BB4_118 Depth=2
                                        ; =>    This Inner Loop Header: Depth=3
	global_load_ubyte v1, v2, s[22:23]
	s_add_i32 s25, s25, -1
	s_waitcnt vmcnt(0)
	v_and_b32_e32 v1, 0xffff, v1
	v_lshlrev_b64 v[3:4], s0, v[1:2]
	s_add_u32 s0, s0, 8
	s_addc_u32 s1, s1, 0
	s_add_u32 s22, s22, 1
	s_addc_u32 s23, s23, 0
	v_or_b32_e32 v23, v3, v23
	s_cmp_lg_u32 s25, 0
	v_or_b32_e32 v24, v4, v24
	s_cbranch_scc1 .LBB4_169
	s_branch .LBB4_172
.LBB4_170:                              ;   in Loop: Header=BB4_118 Depth=2
	s_branch .LBB4_173
.LBB4_171:                              ;   in Loop: Header=BB4_118 Depth=2
	v_mov_b32_e32 v23, 0
	v_mov_b32_e32 v24, 0
.LBB4_172:                              ;   in Loop: Header=BB4_118 Depth=2
	s_cbranch_execnz .LBB4_174
.LBB4_173:                              ;   in Loop: Header=BB4_118 Depth=2
	global_load_dwordx2 v[23:24], v2, s[20:21]
.LBB4_174:                              ;   in Loop: Header=BB4_118 Depth=2
	v_readfirstlane_b32 s0, v40
	v_mov_b32_e32 v3, 0
	v_mov_b32_e32 v4, 0
	v_cmp_eq_u32_e64 s[0:1], s0, v40
	s_and_saveexec_b64 s[20:21], s[0:1]
	s_cbranch_execz .LBB4_180
; %bb.175:                              ;   in Loop: Header=BB4_118 Depth=2
	global_load_dwordx2 v[27:28], v2, s[2:3] offset:24 glc
	s_waitcnt vmcnt(0)
	buffer_wbinvl1_vol
	global_load_dwordx2 v[3:4], v2, s[2:3] offset:40
	global_load_dwordx2 v[25:26], v2, s[2:3]
	s_waitcnt vmcnt(1)
	v_and_b32_e32 v1, v3, v27
	v_and_b32_e32 v3, v4, v28
	v_mul_lo_u32 v3, v3, 24
	v_mul_hi_u32 v4, v1, 24
	v_mul_lo_u32 v1, v1, 24
	v_add_u32_e32 v4, v4, v3
	s_waitcnt vmcnt(0)
	v_add_co_u32_e32 v3, vcc, v25, v1
	v_addc_co_u32_e32 v4, vcc, v26, v4, vcc
	global_load_dwordx2 v[25:26], v[3:4], off glc
	s_waitcnt vmcnt(0)
	global_atomic_cmpswap_x2 v[3:4], v2, v[25:28], s[2:3] offset:24 glc
	s_waitcnt vmcnt(0)
	buffer_wbinvl1_vol
	v_cmp_ne_u64_e32 vcc, v[3:4], v[27:28]
	s_and_saveexec_b64 s[22:23], vcc
	s_cbranch_execz .LBB4_179
; %bb.176:                              ;   in Loop: Header=BB4_118 Depth=2
	s_mov_b64 s[24:25], 0
.LBB4_177:                              ;   Parent Loop BB4_3 Depth=1
                                        ;     Parent Loop BB4_118 Depth=2
                                        ; =>    This Inner Loop Header: Depth=3
	s_sleep 1
	global_load_dwordx2 v[25:26], v2, s[2:3] offset:40
	global_load_dwordx2 v[29:30], v2, s[2:3]
	v_mov_b32_e32 v28, v4
	v_mov_b32_e32 v27, v3
	s_waitcnt vmcnt(1)
	v_and_b32_e32 v1, v25, v27
	s_waitcnt vmcnt(0)
	v_mad_u64_u32 v[3:4], s[26:27], v1, 24, v[29:30]
	v_and_b32_e32 v25, v26, v28
	v_mov_b32_e32 v1, v4
	v_mad_u64_u32 v[25:26], s[26:27], v25, 24, v[1:2]
	v_mov_b32_e32 v4, v25
	global_load_dwordx2 v[25:26], v[3:4], off glc
	s_waitcnt vmcnt(0)
	global_atomic_cmpswap_x2 v[3:4], v2, v[25:28], s[2:3] offset:24 glc
	s_waitcnt vmcnt(0)
	buffer_wbinvl1_vol
	v_cmp_eq_u64_e32 vcc, v[3:4], v[27:28]
	s_or_b64 s[24:25], vcc, s[24:25]
	s_andn2_b64 exec, exec, s[24:25]
	s_cbranch_execnz .LBB4_177
; %bb.178:                              ;   in Loop: Header=BB4_118 Depth=2
	s_or_b64 exec, exec, s[24:25]
.LBB4_179:                              ;   in Loop: Header=BB4_118 Depth=2
	s_or_b64 exec, exec, s[22:23]
.LBB4_180:                              ;   in Loop: Header=BB4_118 Depth=2
	s_or_b64 exec, exec, s[20:21]
	global_load_dwordx2 v[29:30], v2, s[2:3] offset:40
	global_load_dwordx4 v[25:28], v2, s[2:3]
	v_readfirstlane_b32 s21, v4
	v_readfirstlane_b32 s20, v3
	s_mov_b64 s[22:23], exec
	s_waitcnt vmcnt(1)
	v_readfirstlane_b32 s24, v29
	v_readfirstlane_b32 s25, v30
	s_and_b64 s[24:25], s[24:25], s[20:21]
	s_mul_i32 s26, s25, 24
	s_mul_hi_u32 s27, s24, 24
	s_mul_i32 s33, s24, 24
	s_add_i32 s26, s27, s26
	v_mov_b32_e32 v1, s26
	s_waitcnt vmcnt(0)
	v_add_co_u32_e32 v29, vcc, s33, v25
	v_addc_co_u32_e32 v30, vcc, v26, v1, vcc
	s_and_saveexec_b64 s[26:27], s[0:1]
	s_cbranch_execz .LBB4_182
; %bb.181:                              ;   in Loop: Header=BB4_118 Depth=2
	v_mov_b32_e32 v3, s22
	v_mov_b32_e32 v4, s23
	global_store_dwordx4 v[29:30], v[3:6], off offset:8
.LBB4_182:                              ;   in Loop: Header=BB4_118 Depth=2
	s_or_b64 exec, exec, s[26:27]
	s_lshl_b64 s[22:23], s[24:25], 12
	v_mov_b32_e32 v1, s23
	v_add_co_u32_e32 v27, vcc, s22, v27
	v_addc_co_u32_e32 v28, vcc, v28, v1, vcc
	v_cmp_lt_u64_e64 vcc, s[16:17], 57
	s_lshl_b32 s22, s18, 2
	v_cndmask_b32_e32 v1, 0, v31, vcc
	s_add_i32 s22, s22, 28
	v_and_b32_e32 v3, 0xffffff1f, v7
	s_and_b32 s22, s22, 0x1e0
	v_or_b32_e32 v1, v3, v1
	v_or_b32_e32 v7, s22, v1
	v_readfirstlane_b32 s22, v27
	v_readfirstlane_b32 s23, v28
	s_nop 4
	global_store_dwordx4 v43, v[7:10], s[22:23]
	global_store_dwordx4 v43, v[13:16], s[22:23] offset:16
	global_store_dwordx4 v43, v[17:20], s[22:23] offset:32
	;; [unrolled: 1-line block ×3, first 2 shown]
	s_and_saveexec_b64 s[22:23], s[0:1]
	s_cbranch_execz .LBB4_190
; %bb.183:                              ;   in Loop: Header=BB4_118 Depth=2
	global_load_dwordx2 v[15:16], v2, s[2:3] offset:32 glc
	global_load_dwordx2 v[3:4], v2, s[2:3] offset:40
	v_mov_b32_e32 v13, s20
	v_mov_b32_e32 v14, s21
	s_waitcnt vmcnt(0)
	v_readfirstlane_b32 s24, v3
	v_readfirstlane_b32 s25, v4
	s_and_b64 s[24:25], s[24:25], s[20:21]
	s_mul_i32 s25, s25, 24
	s_mul_hi_u32 s26, s24, 24
	s_mul_i32 s24, s24, 24
	s_add_i32 s25, s26, s25
	v_mov_b32_e32 v1, s25
	v_add_co_u32_e32 v3, vcc, s24, v25
	v_addc_co_u32_e32 v4, vcc, v26, v1, vcc
	global_store_dwordx2 v[3:4], v[15:16], off
	s_waitcnt vmcnt(0)
	global_atomic_cmpswap_x2 v[9:10], v2, v[13:16], s[2:3] offset:32 glc
	s_waitcnt vmcnt(0)
	v_cmp_ne_u64_e32 vcc, v[9:10], v[15:16]
	s_and_saveexec_b64 s[24:25], vcc
	s_cbranch_execz .LBB4_186
; %bb.184:                              ;   in Loop: Header=BB4_118 Depth=2
	s_mov_b64 s[26:27], 0
.LBB4_185:                              ;   Parent Loop BB4_3 Depth=1
                                        ;     Parent Loop BB4_118 Depth=2
                                        ; =>    This Inner Loop Header: Depth=3
	s_sleep 1
	global_store_dwordx2 v[3:4], v[9:10], off
	v_mov_b32_e32 v7, s20
	v_mov_b32_e32 v8, s21
	s_waitcnt vmcnt(0)
	global_atomic_cmpswap_x2 v[7:8], v2, v[7:10], s[2:3] offset:32 glc
	s_waitcnt vmcnt(0)
	v_cmp_eq_u64_e32 vcc, v[7:8], v[9:10]
	v_mov_b32_e32 v10, v8
	s_or_b64 s[26:27], vcc, s[26:27]
	v_mov_b32_e32 v9, v7
	s_andn2_b64 exec, exec, s[26:27]
	s_cbranch_execnz .LBB4_185
.LBB4_186:                              ;   in Loop: Header=BB4_118 Depth=2
	s_or_b64 exec, exec, s[24:25]
	global_load_dwordx2 v[3:4], v2, s[2:3] offset:16
	s_mov_b64 s[26:27], exec
	v_mbcnt_lo_u32_b32 v1, s26, 0
	v_mbcnt_hi_u32_b32 v1, s27, v1
	v_cmp_eq_u32_e32 vcc, 0, v1
	s_and_saveexec_b64 s[24:25], vcc
	s_cbranch_execz .LBB4_188
; %bb.187:                              ;   in Loop: Header=BB4_118 Depth=2
	s_bcnt1_i32_b64 s26, s[26:27]
	v_mov_b32_e32 v1, s26
	s_waitcnt vmcnt(0)
	global_atomic_add_x2 v[3:4], v[1:2], off offset:8
.LBB4_188:                              ;   in Loop: Header=BB4_118 Depth=2
	s_or_b64 exec, exec, s[24:25]
	s_waitcnt vmcnt(0)
	global_load_dwordx2 v[7:8], v[3:4], off offset:16
	s_waitcnt vmcnt(0)
	v_cmp_eq_u64_e32 vcc, 0, v[7:8]
	s_cbranch_vccnz .LBB4_190
; %bb.189:                              ;   in Loop: Header=BB4_118 Depth=2
	global_load_dword v1, v[3:4], off offset:24
	s_waitcnt vmcnt(0)
	v_readfirstlane_b32 s24, v1
	s_and_b32 m0, s24, 0xffffff
	global_store_dwordx2 v[7:8], v[1:2], off
	s_sendmsg sendmsg(MSG_INTERRUPT)
.LBB4_190:                              ;   in Loop: Header=BB4_118 Depth=2
	s_or_b64 exec, exec, s[22:23]
	v_add_co_u32_e32 v3, vcc, v27, v43
	v_addc_co_u32_e32 v4, vcc, 0, v28, vcc
	s_branch .LBB4_194
.LBB4_191:                              ;   in Loop: Header=BB4_194 Depth=3
	s_or_b64 exec, exec, s[22:23]
	v_readfirstlane_b32 s22, v1
	s_cmp_eq_u32 s22, 0
	s_cbranch_scc1 .LBB4_193
; %bb.192:                              ;   in Loop: Header=BB4_194 Depth=3
	s_sleep 1
	s_cbranch_execnz .LBB4_194
	s_branch .LBB4_196
.LBB4_193:                              ;   in Loop: Header=BB4_118 Depth=2
	s_branch .LBB4_196
.LBB4_194:                              ;   Parent Loop BB4_3 Depth=1
                                        ;     Parent Loop BB4_118 Depth=2
                                        ; =>    This Inner Loop Header: Depth=3
	v_mov_b32_e32 v1, 1
	s_and_saveexec_b64 s[22:23], s[0:1]
	s_cbranch_execz .LBB4_191
; %bb.195:                              ;   in Loop: Header=BB4_194 Depth=3
	global_load_dword v1, v[29:30], off offset:20 glc
	s_waitcnt vmcnt(0)
	buffer_wbinvl1_vol
	v_and_b32_e32 v1, 1, v1
	s_branch .LBB4_191
.LBB4_196:                              ;   in Loop: Header=BB4_118 Depth=2
	global_load_dwordx2 v[7:8], v[3:4], off
	s_and_saveexec_b64 s[22:23], s[0:1]
	s_cbranch_execz .LBB4_117
; %bb.197:                              ;   in Loop: Header=BB4_118 Depth=2
	global_load_dwordx2 v[3:4], v2, s[2:3] offset:40
	global_load_dwordx2 v[17:18], v2, s[2:3] offset:24 glc
	global_load_dwordx2 v[9:10], v2, s[2:3]
	s_waitcnt vmcnt(2)
	v_readfirstlane_b32 s24, v3
	v_readfirstlane_b32 s25, v4
	s_add_u32 s26, s24, 1
	s_addc_u32 s27, s25, 0
	s_add_u32 s0, s26, s20
	s_addc_u32 s1, s27, s21
	s_cmp_eq_u64 s[0:1], 0
	s_cselect_b32 s1, s27, s1
	s_cselect_b32 s0, s26, s0
	s_and_b64 s[20:21], s[0:1], s[24:25]
	s_mul_i32 s21, s21, 24
	s_mul_hi_u32 s24, s20, 24
	s_mul_i32 s20, s20, 24
	s_add_i32 s21, s24, s21
	v_mov_b32_e32 v1, s21
	s_waitcnt vmcnt(0)
	v_add_co_u32_e32 v3, vcc, s20, v9
	v_addc_co_u32_e32 v4, vcc, v10, v1, vcc
	v_mov_b32_e32 v15, s0
	global_store_dwordx2 v[3:4], v[17:18], off
	v_mov_b32_e32 v16, s1
	s_waitcnt vmcnt(0)
	global_atomic_cmpswap_x2 v[15:16], v2, v[15:18], s[2:3] offset:24 glc
	s_waitcnt vmcnt(0)
	v_cmp_ne_u64_e32 vcc, v[15:16], v[17:18]
	s_and_b64 exec, exec, vcc
	s_cbranch_execz .LBB4_117
; %bb.198:                              ;   in Loop: Header=BB4_118 Depth=2
	s_mov_b64 s[20:21], 0
.LBB4_199:                              ;   Parent Loop BB4_3 Depth=1
                                        ;     Parent Loop BB4_118 Depth=2
                                        ; =>    This Inner Loop Header: Depth=3
	s_sleep 1
	global_store_dwordx2 v[3:4], v[15:16], off
	v_mov_b32_e32 v13, s0
	v_mov_b32_e32 v14, s1
	s_waitcnt vmcnt(0)
	global_atomic_cmpswap_x2 v[9:10], v2, v[13:16], s[2:3] offset:24 glc
	s_waitcnt vmcnt(0)
	v_cmp_eq_u64_e32 vcc, v[9:10], v[15:16]
	v_mov_b32_e32 v16, v10
	s_or_b64 s[20:21], vcc, s[20:21]
	v_mov_b32_e32 v15, v9
	s_andn2_b64 exec, exec, s[20:21]
	s_cbranch_execnz .LBB4_199
	s_branch .LBB4_117
.LBB4_200:                              ;   in Loop: Header=BB4_3 Depth=1
	s_branch .LBB4_257
.LBB4_201:                              ;   in Loop: Header=BB4_3 Depth=1
                                        ; implicit-def: $vgpr11_vgpr12
	s_cbranch_execz .LBB4_115
; %bb.202:                              ;   in Loop: Header=BB4_3 Depth=1
	v_readfirstlane_b32 s0, v40
	v_mov_b32_e32 v3, 0
	v_mov_b32_e32 v4, 0
	v_cmp_eq_u32_e64 s[0:1], s0, v40
	s_and_saveexec_b64 s[14:15], s[0:1]
	s_cbranch_execz .LBB4_208
; %bb.203:                              ;   in Loop: Header=BB4_3 Depth=1
	global_load_dwordx2 v[11:12], v2, s[2:3] offset:24 glc
	s_waitcnt vmcnt(0)
	buffer_wbinvl1_vol
	global_load_dwordx2 v[3:4], v2, s[2:3] offset:40
	global_load_dwordx2 v[9:10], v2, s[2:3]
	s_waitcnt vmcnt(1)
	v_and_b32_e32 v1, v3, v11
	v_and_b32_e32 v3, v4, v12
	v_mul_lo_u32 v3, v3, 24
	v_mul_hi_u32 v4, v1, 24
	v_mul_lo_u32 v1, v1, 24
	v_add_u32_e32 v4, v4, v3
	s_waitcnt vmcnt(0)
	v_add_co_u32_e32 v3, vcc, v9, v1
	v_addc_co_u32_e32 v4, vcc, v10, v4, vcc
	global_load_dwordx2 v[9:10], v[3:4], off glc
	s_waitcnt vmcnt(0)
	global_atomic_cmpswap_x2 v[3:4], v2, v[9:12], s[2:3] offset:24 glc
	s_waitcnt vmcnt(0)
	buffer_wbinvl1_vol
	v_cmp_ne_u64_e32 vcc, v[3:4], v[11:12]
	s_and_saveexec_b64 s[16:17], vcc
	s_cbranch_execz .LBB4_207
; %bb.204:                              ;   in Loop: Header=BB4_3 Depth=1
	s_mov_b64 s[18:19], 0
.LBB4_205:                              ;   Parent Loop BB4_3 Depth=1
                                        ; =>  This Inner Loop Header: Depth=2
	s_sleep 1
	global_load_dwordx2 v[9:10], v2, s[2:3] offset:40
	global_load_dwordx2 v[13:14], v2, s[2:3]
	v_mov_b32_e32 v12, v4
	v_mov_b32_e32 v11, v3
	s_waitcnt vmcnt(1)
	v_and_b32_e32 v1, v9, v11
	s_waitcnt vmcnt(0)
	v_mad_u64_u32 v[3:4], s[20:21], v1, 24, v[13:14]
	v_and_b32_e32 v9, v10, v12
	v_mov_b32_e32 v1, v4
	v_mad_u64_u32 v[9:10], s[20:21], v9, 24, v[1:2]
	v_mov_b32_e32 v4, v9
	global_load_dwordx2 v[9:10], v[3:4], off glc
	s_waitcnt vmcnt(0)
	global_atomic_cmpswap_x2 v[3:4], v2, v[9:12], s[2:3] offset:24 glc
	s_waitcnt vmcnt(0)
	buffer_wbinvl1_vol
	v_cmp_eq_u64_e32 vcc, v[3:4], v[11:12]
	s_or_b64 s[18:19], vcc, s[18:19]
	s_andn2_b64 exec, exec, s[18:19]
	s_cbranch_execnz .LBB4_205
; %bb.206:                              ;   in Loop: Header=BB4_3 Depth=1
	s_or_b64 exec, exec, s[18:19]
.LBB4_207:                              ;   in Loop: Header=BB4_3 Depth=1
	s_or_b64 exec, exec, s[16:17]
.LBB4_208:                              ;   in Loop: Header=BB4_3 Depth=1
	s_or_b64 exec, exec, s[14:15]
	global_load_dwordx2 v[9:10], v2, s[2:3] offset:40
	global_load_dwordx4 v[11:14], v2, s[2:3]
	v_readfirstlane_b32 s15, v4
	v_readfirstlane_b32 s14, v3
	s_mov_b64 s[16:17], exec
	s_waitcnt vmcnt(1)
	v_readfirstlane_b32 s18, v9
	v_readfirstlane_b32 s19, v10
	s_and_b64 s[18:19], s[18:19], s[14:15]
	s_mul_i32 s20, s19, 24
	s_mul_hi_u32 s21, s18, 24
	s_mul_i32 s22, s18, 24
	s_add_i32 s20, s21, s20
	v_mov_b32_e32 v1, s20
	s_waitcnt vmcnt(0)
	v_add_co_u32_e32 v15, vcc, s22, v11
	v_addc_co_u32_e32 v16, vcc, v12, v1, vcc
	s_and_saveexec_b64 s[20:21], s[0:1]
	s_cbranch_execz .LBB4_210
; %bb.209:                              ;   in Loop: Header=BB4_3 Depth=1
	v_mov_b32_e32 v3, s16
	v_mov_b32_e32 v4, s17
	global_store_dwordx4 v[15:16], v[3:6], off offset:8
.LBB4_210:                              ;   in Loop: Header=BB4_3 Depth=1
	s_or_b64 exec, exec, s[20:21]
	s_lshl_b64 s[16:17], s[18:19], 12
	v_mov_b32_e32 v1, s17
	v_add_co_u32_e32 v13, vcc, s16, v13
	v_addc_co_u32_e32 v14, vcc, v14, v1, vcc
	v_and_or_b32 v7, v7, s29, 32
	v_mov_b32_e32 v9, v2
	v_mov_b32_e32 v10, v2
	v_readfirstlane_b32 s16, v13
	v_readfirstlane_b32 s17, v14
	s_nop 4
	global_store_dwordx4 v43, v[7:10], s[16:17]
	s_nop 0
	v_mov_b32_e32 v7, s8
	v_mov_b32_e32 v8, s9
	;; [unrolled: 1-line block ×4, first 2 shown]
	global_store_dwordx4 v43, v[7:10], s[16:17] offset:16
	global_store_dwordx4 v43, v[7:10], s[16:17] offset:32
	;; [unrolled: 1-line block ×3, first 2 shown]
	s_and_saveexec_b64 s[16:17], s[0:1]
	s_cbranch_execz .LBB4_218
; %bb.211:                              ;   in Loop: Header=BB4_3 Depth=1
	global_load_dwordx2 v[19:20], v2, s[2:3] offset:32 glc
	global_load_dwordx2 v[3:4], v2, s[2:3] offset:40
	v_mov_b32_e32 v17, s14
	v_mov_b32_e32 v18, s15
	s_waitcnt vmcnt(0)
	v_readfirstlane_b32 s18, v3
	v_readfirstlane_b32 s19, v4
	s_and_b64 s[18:19], s[18:19], s[14:15]
	s_mul_i32 s19, s19, 24
	s_mul_hi_u32 s20, s18, 24
	s_mul_i32 s18, s18, 24
	s_add_i32 s19, s20, s19
	v_mov_b32_e32 v1, s19
	v_add_co_u32_e32 v3, vcc, s18, v11
	v_addc_co_u32_e32 v4, vcc, v12, v1, vcc
	global_store_dwordx2 v[3:4], v[19:20], off
	s_waitcnt vmcnt(0)
	global_atomic_cmpswap_x2 v[9:10], v2, v[17:20], s[2:3] offset:32 glc
	s_waitcnt vmcnt(0)
	v_cmp_ne_u64_e32 vcc, v[9:10], v[19:20]
	s_and_saveexec_b64 s[18:19], vcc
	s_cbranch_execz .LBB4_214
; %bb.212:                              ;   in Loop: Header=BB4_3 Depth=1
	s_mov_b64 s[20:21], 0
.LBB4_213:                              ;   Parent Loop BB4_3 Depth=1
                                        ; =>  This Inner Loop Header: Depth=2
	s_sleep 1
	global_store_dwordx2 v[3:4], v[9:10], off
	v_mov_b32_e32 v7, s14
	v_mov_b32_e32 v8, s15
	s_waitcnt vmcnt(0)
	global_atomic_cmpswap_x2 v[7:8], v2, v[7:10], s[2:3] offset:32 glc
	s_waitcnt vmcnt(0)
	v_cmp_eq_u64_e32 vcc, v[7:8], v[9:10]
	v_mov_b32_e32 v10, v8
	s_or_b64 s[20:21], vcc, s[20:21]
	v_mov_b32_e32 v9, v7
	s_andn2_b64 exec, exec, s[20:21]
	s_cbranch_execnz .LBB4_213
.LBB4_214:                              ;   in Loop: Header=BB4_3 Depth=1
	s_or_b64 exec, exec, s[18:19]
	global_load_dwordx2 v[3:4], v2, s[2:3] offset:16
	s_mov_b64 s[20:21], exec
	v_mbcnt_lo_u32_b32 v1, s20, 0
	v_mbcnt_hi_u32_b32 v1, s21, v1
	v_cmp_eq_u32_e32 vcc, 0, v1
	s_and_saveexec_b64 s[18:19], vcc
	s_cbranch_execz .LBB4_216
; %bb.215:                              ;   in Loop: Header=BB4_3 Depth=1
	s_bcnt1_i32_b64 s20, s[20:21]
	v_mov_b32_e32 v1, s20
	s_waitcnt vmcnt(0)
	global_atomic_add_x2 v[3:4], v[1:2], off offset:8
.LBB4_216:                              ;   in Loop: Header=BB4_3 Depth=1
	s_or_b64 exec, exec, s[18:19]
	s_waitcnt vmcnt(0)
	global_load_dwordx2 v[7:8], v[3:4], off offset:16
	s_waitcnt vmcnt(0)
	v_cmp_eq_u64_e32 vcc, 0, v[7:8]
	s_cbranch_vccnz .LBB4_218
; %bb.217:                              ;   in Loop: Header=BB4_3 Depth=1
	global_load_dword v1, v[3:4], off offset:24
	s_waitcnt vmcnt(0)
	v_readfirstlane_b32 s18, v1
	s_and_b32 m0, s18, 0xffffff
	global_store_dwordx2 v[7:8], v[1:2], off
	s_sendmsg sendmsg(MSG_INTERRUPT)
.LBB4_218:                              ;   in Loop: Header=BB4_3 Depth=1
	s_or_b64 exec, exec, s[16:17]
	v_add_co_u32_e32 v3, vcc, v13, v43
	v_addc_co_u32_e32 v4, vcc, 0, v14, vcc
	s_branch .LBB4_222
.LBB4_219:                              ;   in Loop: Header=BB4_222 Depth=2
	s_or_b64 exec, exec, s[16:17]
	v_readfirstlane_b32 s16, v1
	s_cmp_eq_u32 s16, 0
	s_cbranch_scc1 .LBB4_221
; %bb.220:                              ;   in Loop: Header=BB4_222 Depth=2
	s_sleep 1
	s_cbranch_execnz .LBB4_222
	s_branch .LBB4_224
.LBB4_221:                              ;   in Loop: Header=BB4_3 Depth=1
	s_branch .LBB4_224
.LBB4_222:                              ;   Parent Loop BB4_3 Depth=1
                                        ; =>  This Inner Loop Header: Depth=2
	v_mov_b32_e32 v1, 1
	s_and_saveexec_b64 s[16:17], s[0:1]
	s_cbranch_execz .LBB4_219
; %bb.223:                              ;   in Loop: Header=BB4_222 Depth=2
	global_load_dword v1, v[15:16], off offset:20 glc
	s_waitcnt vmcnt(0)
	buffer_wbinvl1_vol
	v_and_b32_e32 v1, 1, v1
	s_branch .LBB4_219
.LBB4_224:                              ;   in Loop: Header=BB4_3 Depth=1
	global_load_dwordx2 v[11:12], v[3:4], off
	s_and_saveexec_b64 s[16:17], s[0:1]
	s_cbranch_execz .LBB4_228
; %bb.225:                              ;   in Loop: Header=BB4_3 Depth=1
	global_load_dwordx2 v[3:4], v2, s[2:3] offset:40
	global_load_dwordx2 v[15:16], v2, s[2:3] offset:24 glc
	global_load_dwordx2 v[7:8], v2, s[2:3]
	s_waitcnt vmcnt(2)
	v_readfirstlane_b32 s18, v3
	v_readfirstlane_b32 s19, v4
	s_add_u32 s20, s18, 1
	s_addc_u32 s21, s19, 0
	s_add_u32 s0, s20, s14
	s_addc_u32 s1, s21, s15
	s_cmp_eq_u64 s[0:1], 0
	s_cselect_b32 s1, s21, s1
	s_cselect_b32 s0, s20, s0
	s_and_b64 s[14:15], s[0:1], s[18:19]
	s_mul_i32 s15, s15, 24
	s_mul_hi_u32 s18, s14, 24
	s_mul_i32 s14, s14, 24
	s_add_i32 s15, s18, s15
	v_mov_b32_e32 v1, s15
	s_waitcnt vmcnt(0)
	v_add_co_u32_e32 v3, vcc, s14, v7
	v_addc_co_u32_e32 v4, vcc, v8, v1, vcc
	v_mov_b32_e32 v13, s0
	global_store_dwordx2 v[3:4], v[15:16], off
	v_mov_b32_e32 v14, s1
	s_waitcnt vmcnt(0)
	global_atomic_cmpswap_x2 v[9:10], v2, v[13:16], s[2:3] offset:24 glc
	s_waitcnt vmcnt(0)
	v_cmp_ne_u64_e32 vcc, v[9:10], v[15:16]
	s_and_b64 exec, exec, vcc
	s_cbranch_execz .LBB4_228
; %bb.226:                              ;   in Loop: Header=BB4_3 Depth=1
	s_mov_b64 s[14:15], 0
.LBB4_227:                              ;   Parent Loop BB4_3 Depth=1
                                        ; =>  This Inner Loop Header: Depth=2
	s_sleep 1
	global_store_dwordx2 v[3:4], v[9:10], off
	v_mov_b32_e32 v7, s0
	v_mov_b32_e32 v8, s1
	s_waitcnt vmcnt(0)
	global_atomic_cmpswap_x2 v[7:8], v2, v[7:10], s[2:3] offset:24 glc
	s_waitcnt vmcnt(0)
	v_cmp_eq_u64_e32 vcc, v[7:8], v[9:10]
	v_mov_b32_e32 v10, v8
	s_or_b64 s[14:15], vcc, s[14:15]
	v_mov_b32_e32 v9, v7
	s_andn2_b64 exec, exec, s[14:15]
	s_cbranch_execnz .LBB4_227
.LBB4_228:                              ;   in Loop: Header=BB4_3 Depth=1
	s_or_b64 exec, exec, s[16:17]
	s_and_b64 vcc, exec, s[12:13]
	s_cbranch_vccnz .LBB4_116
.LBB4_229:                              ;   in Loop: Header=BB4_3 Depth=1
                                        ; implicit-def: $vgpr7_vgpr8
	s_cbranch_execz .LBB4_257
; %bb.230:                              ;   in Loop: Header=BB4_3 Depth=1
	v_readfirstlane_b32 s0, v40
	v_mov_b32_e32 v3, 0
	v_mov_b32_e32 v4, 0
	v_cmp_eq_u32_e64 s[0:1], s0, v40
	s_and_saveexec_b64 s[14:15], s[0:1]
	s_cbranch_execz .LBB4_236
; %bb.231:                              ;   in Loop: Header=BB4_3 Depth=1
	global_load_dwordx2 v[9:10], v2, s[2:3] offset:24 glc
	s_waitcnt vmcnt(0)
	buffer_wbinvl1_vol
	global_load_dwordx2 v[3:4], v2, s[2:3] offset:40
	global_load_dwordx2 v[7:8], v2, s[2:3]
	s_waitcnt vmcnt(1)
	v_and_b32_e32 v1, v3, v9
	v_and_b32_e32 v3, v4, v10
	v_mul_lo_u32 v3, v3, 24
	v_mul_hi_u32 v4, v1, 24
	v_mul_lo_u32 v1, v1, 24
	v_add_u32_e32 v4, v4, v3
	s_waitcnt vmcnt(0)
	v_add_co_u32_e32 v3, vcc, v7, v1
	v_addc_co_u32_e32 v4, vcc, v8, v4, vcc
	global_load_dwordx2 v[7:8], v[3:4], off glc
	s_waitcnt vmcnt(0)
	global_atomic_cmpswap_x2 v[3:4], v2, v[7:10], s[2:3] offset:24 glc
	s_waitcnt vmcnt(0)
	buffer_wbinvl1_vol
	v_cmp_ne_u64_e32 vcc, v[3:4], v[9:10]
	s_and_saveexec_b64 s[16:17], vcc
	s_cbranch_execz .LBB4_235
; %bb.232:                              ;   in Loop: Header=BB4_3 Depth=1
	s_mov_b64 s[18:19], 0
.LBB4_233:                              ;   Parent Loop BB4_3 Depth=1
                                        ; =>  This Inner Loop Header: Depth=2
	s_sleep 1
	global_load_dwordx2 v[7:8], v2, s[2:3] offset:40
	global_load_dwordx2 v[13:14], v2, s[2:3]
	v_mov_b32_e32 v10, v4
	v_mov_b32_e32 v9, v3
	s_waitcnt vmcnt(1)
	v_and_b32_e32 v1, v7, v9
	s_waitcnt vmcnt(0)
	v_mad_u64_u32 v[3:4], s[20:21], v1, 24, v[13:14]
	v_and_b32_e32 v7, v8, v10
	v_mov_b32_e32 v1, v4
	v_mad_u64_u32 v[7:8], s[20:21], v7, 24, v[1:2]
	v_mov_b32_e32 v4, v7
	global_load_dwordx2 v[7:8], v[3:4], off glc
	s_waitcnt vmcnt(0)
	global_atomic_cmpswap_x2 v[3:4], v2, v[7:10], s[2:3] offset:24 glc
	s_waitcnt vmcnt(0)
	buffer_wbinvl1_vol
	v_cmp_eq_u64_e32 vcc, v[3:4], v[9:10]
	s_or_b64 s[18:19], vcc, s[18:19]
	s_andn2_b64 exec, exec, s[18:19]
	s_cbranch_execnz .LBB4_233
; %bb.234:                              ;   in Loop: Header=BB4_3 Depth=1
	s_or_b64 exec, exec, s[18:19]
.LBB4_235:                              ;   in Loop: Header=BB4_3 Depth=1
	s_or_b64 exec, exec, s[16:17]
.LBB4_236:                              ;   in Loop: Header=BB4_3 Depth=1
	s_or_b64 exec, exec, s[14:15]
	global_load_dwordx2 v[13:14], v2, s[2:3] offset:40
	global_load_dwordx4 v[7:10], v2, s[2:3]
	v_readfirstlane_b32 s15, v4
	v_readfirstlane_b32 s14, v3
	s_mov_b64 s[16:17], exec
	s_waitcnt vmcnt(1)
	v_readfirstlane_b32 s18, v13
	v_readfirstlane_b32 s19, v14
	s_and_b64 s[18:19], s[18:19], s[14:15]
	s_mul_i32 s20, s19, 24
	s_mul_hi_u32 s21, s18, 24
	s_mul_i32 s22, s18, 24
	s_add_i32 s20, s21, s20
	v_mov_b32_e32 v1, s20
	s_waitcnt vmcnt(0)
	v_add_co_u32_e32 v15, vcc, s22, v7
	v_addc_co_u32_e32 v16, vcc, v8, v1, vcc
	s_and_saveexec_b64 s[20:21], s[0:1]
	s_cbranch_execz .LBB4_238
; %bb.237:                              ;   in Loop: Header=BB4_3 Depth=1
	v_mov_b32_e32 v3, s16
	v_mov_b32_e32 v4, s17
	global_store_dwordx4 v[15:16], v[3:6], off offset:8
.LBB4_238:                              ;   in Loop: Header=BB4_3 Depth=1
	s_or_b64 exec, exec, s[20:21]
	s_lshl_b64 s[16:17], s[18:19], 12
	v_mov_b32_e32 v1, s17
	v_add_co_u32_e32 v17, vcc, s16, v9
	v_addc_co_u32_e32 v18, vcc, v10, v1, vcc
	v_and_or_b32 v11, v11, s29, 32
	v_mov_b32_e32 v13, v2
	v_mov_b32_e32 v14, v2
	v_readfirstlane_b32 s16, v17
	v_readfirstlane_b32 s17, v18
	s_nop 4
	global_store_dwordx4 v43, v[11:14], s[16:17]
	s_nop 0
	v_mov_b32_e32 v12, s11
	v_mov_b32_e32 v11, s10
	;; [unrolled: 1-line block ×4, first 2 shown]
	global_store_dwordx4 v43, v[9:12], s[16:17] offset:16
	global_store_dwordx4 v43, v[9:12], s[16:17] offset:32
	global_store_dwordx4 v43, v[9:12], s[16:17] offset:48
	s_and_saveexec_b64 s[16:17], s[0:1]
	s_cbranch_execz .LBB4_246
; %bb.239:                              ;   in Loop: Header=BB4_3 Depth=1
	global_load_dwordx2 v[11:12], v2, s[2:3] offset:32 glc
	global_load_dwordx2 v[3:4], v2, s[2:3] offset:40
	v_mov_b32_e32 v9, s14
	v_mov_b32_e32 v10, s15
	s_waitcnt vmcnt(0)
	v_readfirstlane_b32 s18, v3
	v_readfirstlane_b32 s19, v4
	s_and_b64 s[18:19], s[18:19], s[14:15]
	s_mul_i32 s19, s19, 24
	s_mul_hi_u32 s20, s18, 24
	s_mul_i32 s18, s18, 24
	s_add_i32 s19, s20, s19
	v_mov_b32_e32 v1, s19
	v_add_co_u32_e32 v3, vcc, s18, v7
	v_addc_co_u32_e32 v4, vcc, v8, v1, vcc
	global_store_dwordx2 v[3:4], v[11:12], off
	s_waitcnt vmcnt(0)
	global_atomic_cmpswap_x2 v[9:10], v2, v[9:12], s[2:3] offset:32 glc
	s_waitcnt vmcnt(0)
	v_cmp_ne_u64_e32 vcc, v[9:10], v[11:12]
	s_and_saveexec_b64 s[18:19], vcc
	s_cbranch_execz .LBB4_242
; %bb.240:                              ;   in Loop: Header=BB4_3 Depth=1
	s_mov_b64 s[20:21], 0
.LBB4_241:                              ;   Parent Loop BB4_3 Depth=1
                                        ; =>  This Inner Loop Header: Depth=2
	s_sleep 1
	global_store_dwordx2 v[3:4], v[9:10], off
	v_mov_b32_e32 v7, s14
	v_mov_b32_e32 v8, s15
	s_waitcnt vmcnt(0)
	global_atomic_cmpswap_x2 v[7:8], v2, v[7:10], s[2:3] offset:32 glc
	s_waitcnt vmcnt(0)
	v_cmp_eq_u64_e32 vcc, v[7:8], v[9:10]
	v_mov_b32_e32 v10, v8
	s_or_b64 s[20:21], vcc, s[20:21]
	v_mov_b32_e32 v9, v7
	s_andn2_b64 exec, exec, s[20:21]
	s_cbranch_execnz .LBB4_241
.LBB4_242:                              ;   in Loop: Header=BB4_3 Depth=1
	s_or_b64 exec, exec, s[18:19]
	global_load_dwordx2 v[3:4], v2, s[2:3] offset:16
	s_mov_b64 s[20:21], exec
	v_mbcnt_lo_u32_b32 v1, s20, 0
	v_mbcnt_hi_u32_b32 v1, s21, v1
	v_cmp_eq_u32_e32 vcc, 0, v1
	s_and_saveexec_b64 s[18:19], vcc
	s_cbranch_execz .LBB4_244
; %bb.243:                              ;   in Loop: Header=BB4_3 Depth=1
	s_bcnt1_i32_b64 s20, s[20:21]
	v_mov_b32_e32 v1, s20
	s_waitcnt vmcnt(0)
	global_atomic_add_x2 v[3:4], v[1:2], off offset:8
.LBB4_244:                              ;   in Loop: Header=BB4_3 Depth=1
	s_or_b64 exec, exec, s[18:19]
	s_waitcnt vmcnt(0)
	global_load_dwordx2 v[7:8], v[3:4], off offset:16
	s_waitcnt vmcnt(0)
	v_cmp_eq_u64_e32 vcc, 0, v[7:8]
	s_cbranch_vccnz .LBB4_246
; %bb.245:                              ;   in Loop: Header=BB4_3 Depth=1
	global_load_dword v1, v[3:4], off offset:24
	s_waitcnt vmcnt(0)
	v_readfirstlane_b32 s18, v1
	s_and_b32 m0, s18, 0xffffff
	global_store_dwordx2 v[7:8], v[1:2], off
	s_sendmsg sendmsg(MSG_INTERRUPT)
.LBB4_246:                              ;   in Loop: Header=BB4_3 Depth=1
	s_or_b64 exec, exec, s[16:17]
	v_add_co_u32_e32 v3, vcc, v17, v43
	v_addc_co_u32_e32 v4, vcc, 0, v18, vcc
	s_branch .LBB4_250
.LBB4_247:                              ;   in Loop: Header=BB4_250 Depth=2
	s_or_b64 exec, exec, s[16:17]
	v_readfirstlane_b32 s16, v1
	s_cmp_eq_u32 s16, 0
	s_cbranch_scc1 .LBB4_249
; %bb.248:                              ;   in Loop: Header=BB4_250 Depth=2
	s_sleep 1
	s_cbranch_execnz .LBB4_250
	s_branch .LBB4_252
.LBB4_249:                              ;   in Loop: Header=BB4_3 Depth=1
	s_branch .LBB4_252
.LBB4_250:                              ;   Parent Loop BB4_3 Depth=1
                                        ; =>  This Inner Loop Header: Depth=2
	v_mov_b32_e32 v1, 1
	s_and_saveexec_b64 s[16:17], s[0:1]
	s_cbranch_execz .LBB4_247
; %bb.251:                              ;   in Loop: Header=BB4_250 Depth=2
	global_load_dword v1, v[15:16], off offset:20 glc
	s_waitcnt vmcnt(0)
	buffer_wbinvl1_vol
	v_and_b32_e32 v1, 1, v1
	s_branch .LBB4_247
.LBB4_252:                              ;   in Loop: Header=BB4_3 Depth=1
	global_load_dwordx2 v[7:8], v[3:4], off
	s_and_saveexec_b64 s[16:17], s[0:1]
	s_cbranch_execz .LBB4_256
; %bb.253:                              ;   in Loop: Header=BB4_3 Depth=1
	global_load_dwordx2 v[3:4], v2, s[2:3] offset:40
	global_load_dwordx2 v[13:14], v2, s[2:3] offset:24 glc
	global_load_dwordx2 v[9:10], v2, s[2:3]
	s_waitcnt vmcnt(2)
	v_readfirstlane_b32 s18, v3
	v_readfirstlane_b32 s19, v4
	s_add_u32 s20, s18, 1
	s_addc_u32 s21, s19, 0
	s_add_u32 s0, s20, s14
	s_addc_u32 s1, s21, s15
	s_cmp_eq_u64 s[0:1], 0
	s_cselect_b32 s1, s21, s1
	s_cselect_b32 s0, s20, s0
	s_and_b64 s[14:15], s[0:1], s[18:19]
	s_mul_i32 s15, s15, 24
	s_mul_hi_u32 s18, s14, 24
	s_mul_i32 s14, s14, 24
	s_add_i32 s15, s18, s15
	v_mov_b32_e32 v1, s15
	s_waitcnt vmcnt(0)
	v_add_co_u32_e32 v3, vcc, s14, v9
	v_addc_co_u32_e32 v4, vcc, v10, v1, vcc
	v_mov_b32_e32 v11, s0
	global_store_dwordx2 v[3:4], v[13:14], off
	v_mov_b32_e32 v12, s1
	s_waitcnt vmcnt(0)
	global_atomic_cmpswap_x2 v[11:12], v2, v[11:14], s[2:3] offset:24 glc
	s_waitcnt vmcnt(0)
	v_cmp_ne_u64_e32 vcc, v[11:12], v[13:14]
	s_and_b64 exec, exec, vcc
	s_cbranch_execz .LBB4_256
; %bb.254:                              ;   in Loop: Header=BB4_3 Depth=1
	s_mov_b64 s[14:15], 0
.LBB4_255:                              ;   Parent Loop BB4_3 Depth=1
                                        ; =>  This Inner Loop Header: Depth=2
	s_sleep 1
	global_store_dwordx2 v[3:4], v[11:12], off
	v_mov_b32_e32 v9, s0
	v_mov_b32_e32 v10, s1
	s_waitcnt vmcnt(0)
	global_atomic_cmpswap_x2 v[9:10], v2, v[9:12], s[2:3] offset:24 glc
	s_waitcnt vmcnt(0)
	v_cmp_eq_u64_e32 vcc, v[9:10], v[11:12]
	v_mov_b32_e32 v12, v10
	s_or_b64 s[14:15], vcc, s[14:15]
	v_mov_b32_e32 v11, v9
	s_andn2_b64 exec, exec, s[14:15]
	s_cbranch_execnz .LBB4_255
.LBB4_256:                              ;   in Loop: Header=BB4_3 Depth=1
	s_or_b64 exec, exec, s[16:17]
.LBB4_257:                              ;   in Loop: Header=BB4_3 Depth=1
	v_readfirstlane_b32 s0, v40
	v_mov_b32_e32 v3, 0
	v_mov_b32_e32 v4, 0
	v_cmp_eq_u32_e64 s[0:1], s0, v40
	s_and_saveexec_b64 s[14:15], s[0:1]
	s_cbranch_execz .LBB4_263
; %bb.258:                              ;   in Loop: Header=BB4_3 Depth=1
	global_load_dwordx2 v[11:12], v2, s[2:3] offset:24 glc
	s_waitcnt vmcnt(0)
	buffer_wbinvl1_vol
	global_load_dwordx2 v[3:4], v2, s[2:3] offset:40
	global_load_dwordx2 v[9:10], v2, s[2:3]
	s_waitcnt vmcnt(1)
	v_and_b32_e32 v1, v3, v11
	v_and_b32_e32 v3, v4, v12
	v_mul_lo_u32 v3, v3, 24
	v_mul_hi_u32 v4, v1, 24
	v_mul_lo_u32 v1, v1, 24
	v_add_u32_e32 v4, v4, v3
	s_waitcnt vmcnt(0)
	v_add_co_u32_e32 v3, vcc, v9, v1
	v_addc_co_u32_e32 v4, vcc, v10, v4, vcc
	global_load_dwordx2 v[9:10], v[3:4], off glc
	s_waitcnt vmcnt(0)
	global_atomic_cmpswap_x2 v[3:4], v2, v[9:12], s[2:3] offset:24 glc
	s_waitcnt vmcnt(0)
	buffer_wbinvl1_vol
	v_cmp_ne_u64_e32 vcc, v[3:4], v[11:12]
	s_and_saveexec_b64 s[16:17], vcc
	s_cbranch_execz .LBB4_262
; %bb.259:                              ;   in Loop: Header=BB4_3 Depth=1
	s_mov_b64 s[18:19], 0
.LBB4_260:                              ;   Parent Loop BB4_3 Depth=1
                                        ; =>  This Inner Loop Header: Depth=2
	s_sleep 1
	global_load_dwordx2 v[9:10], v2, s[2:3] offset:40
	global_load_dwordx2 v[13:14], v2, s[2:3]
	v_mov_b32_e32 v12, v4
	v_mov_b32_e32 v11, v3
	s_waitcnt vmcnt(1)
	v_and_b32_e32 v1, v9, v11
	s_waitcnt vmcnt(0)
	v_mad_u64_u32 v[3:4], s[20:21], v1, 24, v[13:14]
	v_and_b32_e32 v9, v10, v12
	v_mov_b32_e32 v1, v4
	v_mad_u64_u32 v[9:10], s[20:21], v9, 24, v[1:2]
	v_mov_b32_e32 v4, v9
	global_load_dwordx2 v[9:10], v[3:4], off glc
	s_waitcnt vmcnt(0)
	global_atomic_cmpswap_x2 v[3:4], v2, v[9:12], s[2:3] offset:24 glc
	s_waitcnt vmcnt(0)
	buffer_wbinvl1_vol
	v_cmp_eq_u64_e32 vcc, v[3:4], v[11:12]
	s_or_b64 s[18:19], vcc, s[18:19]
	s_andn2_b64 exec, exec, s[18:19]
	s_cbranch_execnz .LBB4_260
; %bb.261:                              ;   in Loop: Header=BB4_3 Depth=1
	s_or_b64 exec, exec, s[18:19]
.LBB4_262:                              ;   in Loop: Header=BB4_3 Depth=1
	s_or_b64 exec, exec, s[16:17]
.LBB4_263:                              ;   in Loop: Header=BB4_3 Depth=1
	s_or_b64 exec, exec, s[14:15]
	global_load_dwordx2 v[9:10], v2, s[2:3] offset:40
	global_load_dwordx4 v[11:14], v2, s[2:3]
	v_readfirstlane_b32 s15, v4
	v_readfirstlane_b32 s14, v3
	s_mov_b64 s[16:17], exec
	s_waitcnt vmcnt(1)
	v_readfirstlane_b32 s18, v9
	v_readfirstlane_b32 s19, v10
	s_and_b64 s[18:19], s[18:19], s[14:15]
	s_mul_i32 s20, s19, 24
	s_mul_hi_u32 s21, s18, 24
	s_mul_i32 s22, s18, 24
	s_add_i32 s20, s21, s20
	v_mov_b32_e32 v1, s20
	s_waitcnt vmcnt(0)
	v_add_co_u32_e32 v15, vcc, s22, v11
	v_addc_co_u32_e32 v16, vcc, v12, v1, vcc
	s_and_saveexec_b64 s[20:21], s[0:1]
	s_cbranch_execz .LBB4_265
; %bb.264:                              ;   in Loop: Header=BB4_3 Depth=1
	v_mov_b32_e32 v3, s16
	v_mov_b32_e32 v4, s17
	global_store_dwordx4 v[15:16], v[3:6], off offset:8
.LBB4_265:                              ;   in Loop: Header=BB4_3 Depth=1
	s_or_b64 exec, exec, s[20:21]
	s_lshl_b64 s[16:17], s[18:19], 12
	v_mov_b32_e32 v1, s17
	v_add_co_u32_e32 v17, vcc, s16, v13
	v_addc_co_u32_e32 v14, vcc, v14, v1, vcc
	v_mov_b32_e32 v21, s11
	v_add_u32_e32 v9, s31, v35
	v_and_or_b32 v7, v7, s30, 34
	v_mov_b32_e32 v10, v2
	v_readfirstlane_b32 s16, v17
	v_readfirstlane_b32 s17, v14
	v_mov_b32_e32 v20, s10
	v_mov_b32_e32 v19, s9
	;; [unrolled: 1-line block ×3, first 2 shown]
	s_nop 1
	global_store_dwordx4 v43, v[7:10], s[16:17]
	global_store_dwordx4 v43, v[18:21], s[16:17] offset:16
	global_store_dwordx4 v43, v[18:21], s[16:17] offset:32
	;; [unrolled: 1-line block ×3, first 2 shown]
	s_and_saveexec_b64 s[16:17], s[0:1]
	s_cbranch_execz .LBB4_273
; %bb.266:                              ;   in Loop: Header=BB4_3 Depth=1
	global_load_dwordx2 v[20:21], v2, s[2:3] offset:32 glc
	global_load_dwordx2 v[3:4], v2, s[2:3] offset:40
	v_mov_b32_e32 v18, s14
	v_mov_b32_e32 v19, s15
	s_waitcnt vmcnt(0)
	v_readfirstlane_b32 s18, v3
	v_readfirstlane_b32 s19, v4
	s_and_b64 s[18:19], s[18:19], s[14:15]
	s_mul_i32 s19, s19, 24
	s_mul_hi_u32 s20, s18, 24
	s_mul_i32 s18, s18, 24
	s_add_i32 s19, s20, s19
	v_mov_b32_e32 v1, s19
	v_add_co_u32_e32 v3, vcc, s18, v11
	v_addc_co_u32_e32 v4, vcc, v12, v1, vcc
	global_store_dwordx2 v[3:4], v[20:21], off
	s_waitcnt vmcnt(0)
	global_atomic_cmpswap_x2 v[12:13], v2, v[18:21], s[2:3] offset:32 glc
	s_waitcnt vmcnt(0)
	v_cmp_ne_u64_e32 vcc, v[12:13], v[20:21]
	s_and_saveexec_b64 s[18:19], vcc
	s_cbranch_execz .LBB4_269
; %bb.267:                              ;   in Loop: Header=BB4_3 Depth=1
	s_mov_b64 s[20:21], 0
.LBB4_268:                              ;   Parent Loop BB4_3 Depth=1
                                        ; =>  This Inner Loop Header: Depth=2
	s_sleep 1
	global_store_dwordx2 v[3:4], v[12:13], off
	v_mov_b32_e32 v10, s14
	v_mov_b32_e32 v11, s15
	s_waitcnt vmcnt(0)
	global_atomic_cmpswap_x2 v[7:8], v2, v[10:13], s[2:3] offset:32 glc
	s_waitcnt vmcnt(0)
	v_cmp_eq_u64_e32 vcc, v[7:8], v[12:13]
	v_mov_b32_e32 v13, v8
	s_or_b64 s[20:21], vcc, s[20:21]
	v_mov_b32_e32 v12, v7
	s_andn2_b64 exec, exec, s[20:21]
	s_cbranch_execnz .LBB4_268
.LBB4_269:                              ;   in Loop: Header=BB4_3 Depth=1
	s_or_b64 exec, exec, s[18:19]
	global_load_dwordx2 v[3:4], v2, s[2:3] offset:16
	s_mov_b64 s[20:21], exec
	v_mbcnt_lo_u32_b32 v1, s20, 0
	v_mbcnt_hi_u32_b32 v1, s21, v1
	v_cmp_eq_u32_e32 vcc, 0, v1
	s_and_saveexec_b64 s[18:19], vcc
	s_cbranch_execz .LBB4_271
; %bb.270:                              ;   in Loop: Header=BB4_3 Depth=1
	s_bcnt1_i32_b64 s20, s[20:21]
	v_mov_b32_e32 v1, s20
	s_waitcnt vmcnt(0)
	global_atomic_add_x2 v[3:4], v[1:2], off offset:8
.LBB4_271:                              ;   in Loop: Header=BB4_3 Depth=1
	s_or_b64 exec, exec, s[18:19]
	s_waitcnt vmcnt(0)
	global_load_dwordx2 v[7:8], v[3:4], off offset:16
	s_waitcnt vmcnt(0)
	v_cmp_eq_u64_e32 vcc, 0, v[7:8]
	s_cbranch_vccnz .LBB4_273
; %bb.272:                              ;   in Loop: Header=BB4_3 Depth=1
	global_load_dword v1, v[3:4], off offset:24
	s_waitcnt vmcnt(0)
	v_readfirstlane_b32 s18, v1
	s_and_b32 m0, s18, 0xffffff
	global_store_dwordx2 v[7:8], v[1:2], off
	s_sendmsg sendmsg(MSG_INTERRUPT)
.LBB4_273:                              ;   in Loop: Header=BB4_3 Depth=1
	s_or_b64 exec, exec, s[16:17]
	v_add_co_u32_e32 v3, vcc, v17, v43
	v_addc_co_u32_e32 v4, vcc, 0, v14, vcc
	s_branch .LBB4_277
.LBB4_274:                              ;   in Loop: Header=BB4_277 Depth=2
	s_or_b64 exec, exec, s[16:17]
	v_readfirstlane_b32 s16, v1
	s_cmp_eq_u32 s16, 0
	s_cbranch_scc1 .LBB4_276
; %bb.275:                              ;   in Loop: Header=BB4_277 Depth=2
	s_sleep 1
	s_cbranch_execnz .LBB4_277
	s_branch .LBB4_279
.LBB4_276:                              ;   in Loop: Header=BB4_3 Depth=1
	s_branch .LBB4_279
.LBB4_277:                              ;   Parent Loop BB4_3 Depth=1
                                        ; =>  This Inner Loop Header: Depth=2
	v_mov_b32_e32 v1, 1
	s_and_saveexec_b64 s[16:17], s[0:1]
	s_cbranch_execz .LBB4_274
; %bb.278:                              ;   in Loop: Header=BB4_277 Depth=2
	global_load_dword v1, v[15:16], off offset:20 glc
	s_waitcnt vmcnt(0)
	buffer_wbinvl1_vol
	v_and_b32_e32 v1, 1, v1
	s_branch .LBB4_274
.LBB4_279:                              ;   in Loop: Header=BB4_3 Depth=1
	global_load_dwordx2 v[36:37], v[3:4], off
	s_and_saveexec_b64 s[16:17], s[0:1]
	s_cbranch_execz .LBB4_283
; %bb.280:                              ;   in Loop: Header=BB4_3 Depth=1
	global_load_dwordx2 v[3:4], v2, s[2:3] offset:40
	global_load_dwordx2 v[14:15], v2, s[2:3] offset:24 glc
	global_load_dwordx2 v[7:8], v2, s[2:3]
	s_waitcnt vmcnt(2)
	v_readfirstlane_b32 s18, v3
	v_readfirstlane_b32 s19, v4
	s_add_u32 s20, s18, 1
	s_addc_u32 s21, s19, 0
	s_add_u32 s0, s20, s14
	s_addc_u32 s1, s21, s15
	s_cmp_eq_u64 s[0:1], 0
	s_cselect_b32 s1, s21, s1
	s_cselect_b32 s0, s20, s0
	s_and_b64 s[14:15], s[0:1], s[18:19]
	s_mul_i32 s15, s15, 24
	s_mul_hi_u32 s18, s14, 24
	s_mul_i32 s14, s14, 24
	s_add_i32 s15, s18, s15
	v_mov_b32_e32 v1, s15
	s_waitcnt vmcnt(0)
	v_add_co_u32_e32 v3, vcc, s14, v7
	v_addc_co_u32_e32 v4, vcc, v8, v1, vcc
	v_mov_b32_e32 v12, s0
	global_store_dwordx2 v[3:4], v[14:15], off
	v_mov_b32_e32 v13, s1
	s_waitcnt vmcnt(0)
	global_atomic_cmpswap_x2 v[12:13], v2, v[12:15], s[2:3] offset:24 glc
	s_waitcnt vmcnt(0)
	v_cmp_ne_u64_e32 vcc, v[12:13], v[14:15]
	s_and_b64 exec, exec, vcc
	s_cbranch_execz .LBB4_283
; %bb.281:                              ;   in Loop: Header=BB4_3 Depth=1
	s_mov_b64 s[14:15], 0
.LBB4_282:                              ;   Parent Loop BB4_3 Depth=1
                                        ; =>  This Inner Loop Header: Depth=2
	s_sleep 1
	global_store_dwordx2 v[3:4], v[12:13], off
	v_mov_b32_e32 v10, s0
	v_mov_b32_e32 v11, s1
	s_waitcnt vmcnt(0)
	global_atomic_cmpswap_x2 v[7:8], v2, v[10:13], s[2:3] offset:24 glc
	s_waitcnt vmcnt(0)
	v_cmp_eq_u64_e32 vcc, v[7:8], v[12:13]
	v_mov_b32_e32 v13, v8
	s_or_b64 s[14:15], vcc, s[14:15]
	v_mov_b32_e32 v12, v7
	s_andn2_b64 exec, exec, s[14:15]
	s_cbranch_execnz .LBB4_282
.LBB4_283:                              ;   in Loop: Header=BB4_3 Depth=1
	s_or_b64 exec, exec, s[16:17]
	v_readfirstlane_b32 s0, v40
	v_mov_b32_e32 v3, 0
	v_mov_b32_e32 v4, 0
	v_cmp_eq_u32_e64 s[0:1], s0, v40
	s_and_saveexec_b64 s[14:15], s[0:1]
	s_cbranch_execz .LBB4_289
; %bb.284:                              ;   in Loop: Header=BB4_3 Depth=1
	global_load_dwordx2 v[12:13], v2, s[2:3] offset:24 glc
	s_waitcnt vmcnt(0)
	buffer_wbinvl1_vol
	global_load_dwordx2 v[3:4], v2, s[2:3] offset:40
	global_load_dwordx2 v[7:8], v2, s[2:3]
	s_waitcnt vmcnt(1)
	v_and_b32_e32 v1, v3, v12
	v_and_b32_e32 v3, v4, v13
	v_mul_lo_u32 v3, v3, 24
	v_mul_hi_u32 v4, v1, 24
	v_mul_lo_u32 v1, v1, 24
	v_add_u32_e32 v4, v4, v3
	s_waitcnt vmcnt(0)
	v_add_co_u32_e32 v3, vcc, v7, v1
	v_addc_co_u32_e32 v4, vcc, v8, v4, vcc
	global_load_dwordx2 v[10:11], v[3:4], off glc
	s_waitcnt vmcnt(0)
	global_atomic_cmpswap_x2 v[3:4], v2, v[10:13], s[2:3] offset:24 glc
	s_waitcnt vmcnt(0)
	buffer_wbinvl1_vol
	v_cmp_ne_u64_e32 vcc, v[3:4], v[12:13]
	s_and_saveexec_b64 s[16:17], vcc
	s_cbranch_execz .LBB4_288
; %bb.285:                              ;   in Loop: Header=BB4_3 Depth=1
	s_mov_b64 s[18:19], 0
.LBB4_286:                              ;   Parent Loop BB4_3 Depth=1
                                        ; =>  This Inner Loop Header: Depth=2
	s_sleep 1
	global_load_dwordx2 v[7:8], v2, s[2:3] offset:40
	global_load_dwordx2 v[10:11], v2, s[2:3]
	v_mov_b32_e32 v13, v4
	v_mov_b32_e32 v12, v3
	s_waitcnt vmcnt(1)
	v_and_b32_e32 v1, v7, v12
	s_waitcnt vmcnt(0)
	v_mad_u64_u32 v[3:4], s[20:21], v1, 24, v[10:11]
	v_and_b32_e32 v7, v8, v13
	v_mov_b32_e32 v1, v4
	v_mad_u64_u32 v[7:8], s[20:21], v7, 24, v[1:2]
	v_mov_b32_e32 v4, v7
	global_load_dwordx2 v[10:11], v[3:4], off glc
	s_waitcnt vmcnt(0)
	global_atomic_cmpswap_x2 v[3:4], v2, v[10:13], s[2:3] offset:24 glc
	s_waitcnt vmcnt(0)
	buffer_wbinvl1_vol
	v_cmp_eq_u64_e32 vcc, v[3:4], v[12:13]
	s_or_b64 s[18:19], vcc, s[18:19]
	s_andn2_b64 exec, exec, s[18:19]
	s_cbranch_execnz .LBB4_286
; %bb.287:                              ;   in Loop: Header=BB4_3 Depth=1
	s_or_b64 exec, exec, s[18:19]
.LBB4_288:                              ;   in Loop: Header=BB4_3 Depth=1
	s_or_b64 exec, exec, s[16:17]
.LBB4_289:                              ;   in Loop: Header=BB4_3 Depth=1
	s_or_b64 exec, exec, s[14:15]
	global_load_dwordx2 v[7:8], v2, s[2:3] offset:40
	global_load_dwordx4 v[10:13], v2, s[2:3]
	v_readfirstlane_b32 s15, v4
	v_readfirstlane_b32 s14, v3
	s_mov_b64 s[16:17], exec
	s_waitcnt vmcnt(1)
	v_readfirstlane_b32 s18, v7
	v_readfirstlane_b32 s19, v8
	s_and_b64 s[18:19], s[18:19], s[14:15]
	s_mul_i32 s20, s19, 24
	s_mul_hi_u32 s21, s18, 24
	s_mul_i32 s22, s18, 24
	s_add_i32 s20, s21, s20
	v_mov_b32_e32 v1, s20
	s_waitcnt vmcnt(0)
	v_add_co_u32_e32 v7, vcc, s22, v10
	v_addc_co_u32_e32 v8, vcc, v11, v1, vcc
	s_and_saveexec_b64 s[20:21], s[0:1]
	s_cbranch_execz .LBB4_291
; %bb.290:                              ;   in Loop: Header=BB4_3 Depth=1
	v_mov_b32_e32 v3, s16
	v_mov_b32_e32 v4, s17
	global_store_dwordx4 v[7:8], v[3:6], off offset:8
.LBB4_291:                              ;   in Loop: Header=BB4_3 Depth=1
	s_or_b64 exec, exec, s[20:21]
	s_lshl_b64 s[16:17], s[18:19], 12
	v_mov_b32_e32 v1, s17
	v_add_co_u32_e32 v14, vcc, s16, v12
	v_addc_co_u32_e32 v15, vcc, v13, v1, vcc
	v_mov_b32_e32 v19, s11
	v_mov_b32_e32 v1, v2
	;; [unrolled: 1-line block ×3, first 2 shown]
	v_readfirstlane_b32 s16, v14
	v_readfirstlane_b32 s17, v15
	v_mov_b32_e32 v18, s10
	v_mov_b32_e32 v17, s9
	;; [unrolled: 1-line block ×3, first 2 shown]
	s_nop 1
	global_store_dwordx4 v43, v[0:3], s[16:17]
	global_store_dwordx4 v43, v[16:19], s[16:17] offset:16
	global_store_dwordx4 v43, v[16:19], s[16:17] offset:32
	;; [unrolled: 1-line block ×3, first 2 shown]
	s_and_saveexec_b64 s[16:17], s[0:1]
	s_cbranch_execz .LBB4_299
; %bb.292:                              ;   in Loop: Header=BB4_3 Depth=1
	global_load_dwordx2 v[18:19], v2, s[2:3] offset:32 glc
	global_load_dwordx2 v[3:4], v2, s[2:3] offset:40
	v_mov_b32_e32 v16, s14
	v_mov_b32_e32 v17, s15
	s_waitcnt vmcnt(0)
	v_readfirstlane_b32 s18, v3
	v_readfirstlane_b32 s19, v4
	s_and_b64 s[18:19], s[18:19], s[14:15]
	s_mul_i32 s19, s19, 24
	s_mul_hi_u32 s20, s18, 24
	s_mul_i32 s18, s18, 24
	s_add_i32 s19, s20, s19
	v_mov_b32_e32 v1, s19
	v_add_co_u32_e32 v3, vcc, s18, v10
	v_addc_co_u32_e32 v4, vcc, v11, v1, vcc
	global_store_dwordx2 v[3:4], v[18:19], off
	s_waitcnt vmcnt(0)
	global_atomic_cmpswap_x2 v[12:13], v2, v[16:19], s[2:3] offset:32 glc
	s_waitcnt vmcnt(0)
	v_cmp_ne_u64_e32 vcc, v[12:13], v[18:19]
	s_and_saveexec_b64 s[18:19], vcc
	s_cbranch_execz .LBB4_295
; %bb.293:                              ;   in Loop: Header=BB4_3 Depth=1
	s_mov_b64 s[20:21], 0
.LBB4_294:                              ;   Parent Loop BB4_3 Depth=1
                                        ; =>  This Inner Loop Header: Depth=2
	s_sleep 1
	global_store_dwordx2 v[3:4], v[12:13], off
	v_mov_b32_e32 v10, s14
	v_mov_b32_e32 v11, s15
	s_waitcnt vmcnt(0)
	global_atomic_cmpswap_x2 v[10:11], v2, v[10:13], s[2:3] offset:32 glc
	s_waitcnt vmcnt(0)
	v_cmp_eq_u64_e32 vcc, v[10:11], v[12:13]
	v_mov_b32_e32 v13, v11
	s_or_b64 s[20:21], vcc, s[20:21]
	v_mov_b32_e32 v12, v10
	s_andn2_b64 exec, exec, s[20:21]
	s_cbranch_execnz .LBB4_294
.LBB4_295:                              ;   in Loop: Header=BB4_3 Depth=1
	s_or_b64 exec, exec, s[18:19]
	global_load_dwordx2 v[3:4], v2, s[2:3] offset:16
	s_mov_b64 s[20:21], exec
	v_mbcnt_lo_u32_b32 v1, s20, 0
	v_mbcnt_hi_u32_b32 v1, s21, v1
	v_cmp_eq_u32_e32 vcc, 0, v1
	s_and_saveexec_b64 s[18:19], vcc
	s_cbranch_execz .LBB4_297
; %bb.296:                              ;   in Loop: Header=BB4_3 Depth=1
	s_bcnt1_i32_b64 s20, s[20:21]
	v_mov_b32_e32 v1, s20
	s_waitcnt vmcnt(0)
	global_atomic_add_x2 v[3:4], v[1:2], off offset:8
.LBB4_297:                              ;   in Loop: Header=BB4_3 Depth=1
	s_or_b64 exec, exec, s[18:19]
	s_waitcnt vmcnt(0)
	global_load_dwordx2 v[10:11], v[3:4], off offset:16
	s_waitcnt vmcnt(0)
	v_cmp_eq_u64_e32 vcc, 0, v[10:11]
	s_cbranch_vccnz .LBB4_299
; %bb.298:                              ;   in Loop: Header=BB4_3 Depth=1
	global_load_dword v1, v[3:4], off offset:24
	s_waitcnt vmcnt(0)
	v_readfirstlane_b32 s18, v1
	s_and_b32 m0, s18, 0xffffff
	global_store_dwordx2 v[10:11], v[1:2], off
	s_sendmsg sendmsg(MSG_INTERRUPT)
.LBB4_299:                              ;   in Loop: Header=BB4_3 Depth=1
	s_or_b64 exec, exec, s[16:17]
	v_add_co_u32_e32 v3, vcc, v14, v43
	v_addc_co_u32_e32 v4, vcc, 0, v15, vcc
	s_branch .LBB4_303
.LBB4_300:                              ;   in Loop: Header=BB4_303 Depth=2
	s_or_b64 exec, exec, s[16:17]
	v_readfirstlane_b32 s16, v1
	s_cmp_eq_u32 s16, 0
	s_cbranch_scc1 .LBB4_302
; %bb.301:                              ;   in Loop: Header=BB4_303 Depth=2
	s_sleep 1
	s_cbranch_execnz .LBB4_303
	s_branch .LBB4_305
.LBB4_302:                              ;   in Loop: Header=BB4_3 Depth=1
	s_branch .LBB4_305
.LBB4_303:                              ;   Parent Loop BB4_3 Depth=1
                                        ; =>  This Inner Loop Header: Depth=2
	v_mov_b32_e32 v1, 1
	s_and_saveexec_b64 s[16:17], s[0:1]
	s_cbranch_execz .LBB4_300
; %bb.304:                              ;   in Loop: Header=BB4_303 Depth=2
	global_load_dword v1, v[7:8], off offset:20 glc
	s_waitcnt vmcnt(0)
	buffer_wbinvl1_vol
	v_and_b32_e32 v1, 1, v1
	s_branch .LBB4_300
.LBB4_305:                              ;   in Loop: Header=BB4_3 Depth=1
	global_load_dwordx2 v[14:15], v[3:4], off
	s_and_saveexec_b64 s[16:17], s[0:1]
	s_cbranch_execz .LBB4_309
; %bb.306:                              ;   in Loop: Header=BB4_3 Depth=1
	global_load_dwordx2 v[3:4], v2, s[2:3] offset:40
	global_load_dwordx2 v[18:19], v2, s[2:3] offset:24 glc
	global_load_dwordx2 v[7:8], v2, s[2:3]
	s_waitcnt vmcnt(2)
	v_readfirstlane_b32 s18, v3
	v_readfirstlane_b32 s19, v4
	s_add_u32 s20, s18, 1
	s_addc_u32 s21, s19, 0
	s_add_u32 s0, s20, s14
	s_addc_u32 s1, s21, s15
	s_cmp_eq_u64 s[0:1], 0
	s_cselect_b32 s1, s21, s1
	s_cselect_b32 s0, s20, s0
	s_and_b64 s[14:15], s[0:1], s[18:19]
	s_mul_i32 s15, s15, 24
	s_mul_hi_u32 s18, s14, 24
	s_mul_i32 s14, s14, 24
	s_add_i32 s15, s18, s15
	v_mov_b32_e32 v1, s15
	s_waitcnt vmcnt(0)
	v_add_co_u32_e32 v3, vcc, s14, v7
	v_addc_co_u32_e32 v4, vcc, v8, v1, vcc
	v_mov_b32_e32 v16, s0
	global_store_dwordx2 v[3:4], v[18:19], off
	v_mov_b32_e32 v17, s1
	s_waitcnt vmcnt(0)
	global_atomic_cmpswap_x2 v[12:13], v2, v[16:19], s[2:3] offset:24 glc
	s_waitcnt vmcnt(0)
	v_cmp_ne_u64_e32 vcc, v[12:13], v[18:19]
	s_and_b64 exec, exec, vcc
	s_cbranch_execz .LBB4_309
; %bb.307:                              ;   in Loop: Header=BB4_3 Depth=1
	s_mov_b64 s[14:15], 0
.LBB4_308:                              ;   Parent Loop BB4_3 Depth=1
                                        ; =>  This Inner Loop Header: Depth=2
	s_sleep 1
	global_store_dwordx2 v[3:4], v[12:13], off
	v_mov_b32_e32 v10, s0
	v_mov_b32_e32 v11, s1
	s_waitcnt vmcnt(0)
	global_atomic_cmpswap_x2 v[7:8], v2, v[10:13], s[2:3] offset:24 glc
	s_waitcnt vmcnt(0)
	v_cmp_eq_u64_e32 vcc, v[7:8], v[12:13]
	v_mov_b32_e32 v13, v8
	s_or_b64 s[14:15], vcc, s[14:15]
	v_mov_b32_e32 v12, v7
	s_andn2_b64 exec, exec, s[14:15]
	s_cbranch_execnz .LBB4_308
.LBB4_309:                              ;   in Loop: Header=BB4_3 Depth=1
	s_or_b64 exec, exec, s[16:17]
	s_and_b64 vcc, exec, s[6:7]
	s_cbranch_vccz .LBB4_481
; %bb.310:                              ;   in Loop: Header=BB4_3 Depth=1
	s_waitcnt vmcnt(0)
	v_and_b32_e32 v32, 2, v14
	v_and_b32_e32 v10, -3, v14
	v_mov_b32_e32 v11, v15
	s_mov_b64 s[16:17], 6
	s_getpc_b64 s[14:15]
	s_add_u32 s14, s14, .str.7@rel32@lo+4
	s_addc_u32 s15, s15, .str.7@rel32@hi+12
	s_branch .LBB4_312
.LBB4_311:                              ;   in Loop: Header=BB4_312 Depth=2
	s_or_b64 exec, exec, s[22:23]
	s_sub_u32 s16, s16, s18
	s_subb_u32 s17, s17, s19
	s_add_u32 s14, s14, s18
	s_addc_u32 s15, s15, s19
	s_cmp_lg_u64 s[16:17], 0
	s_cbranch_scc0 .LBB4_394
.LBB4_312:                              ;   Parent Loop BB4_3 Depth=1
                                        ; =>  This Loop Header: Depth=2
                                        ;       Child Loop BB4_315 Depth 3
                                        ;       Child Loop BB4_323 Depth 3
	;; [unrolled: 1-line block ×11, first 2 shown]
	v_cmp_lt_u64_e64 s[0:1], s[16:17], 56
	v_cmp_gt_u64_e64 s[20:21], s[16:17], 7
	s_and_b64 s[0:1], s[0:1], exec
	s_cselect_b32 s19, s17, 0
	s_cselect_b32 s18, s16, 56
	s_add_u32 s0, s14, 8
	s_addc_u32 s1, s15, 0
	s_and_b64 vcc, exec, s[20:21]
	s_cbranch_vccnz .LBB4_316
; %bb.313:                              ;   in Loop: Header=BB4_312 Depth=2
	s_cmp_eq_u64 s[16:17], 0
	s_cbranch_scc1 .LBB4_317
; %bb.314:                              ;   in Loop: Header=BB4_312 Depth=2
	v_mov_b32_e32 v12, 0
	s_lshl_b64 s[0:1], s[18:19], 3
	s_mov_b64 s[20:21], 0
	v_mov_b32_e32 v13, 0
	s_mov_b64 s[22:23], s[14:15]
.LBB4_315:                              ;   Parent Loop BB4_3 Depth=1
                                        ;     Parent Loop BB4_312 Depth=2
                                        ; =>    This Inner Loop Header: Depth=3
	global_load_ubyte v1, v2, s[22:23]
	s_waitcnt vmcnt(0)
	v_and_b32_e32 v1, 0xffff, v1
	v_lshlrev_b64 v[3:4], s20, v[1:2]
	s_add_u32 s20, s20, 8
	s_addc_u32 s21, s21, 0
	s_add_u32 s22, s22, 1
	s_addc_u32 s23, s23, 0
	v_or_b32_e32 v12, v3, v12
	s_cmp_lg_u32 s0, s20
	v_or_b32_e32 v13, v4, v13
	s_cbranch_scc1 .LBB4_315
	s_branch .LBB4_318
.LBB4_316:                              ;   in Loop: Header=BB4_312 Depth=2
	s_mov_b32 s24, 0
	s_branch .LBB4_319
.LBB4_317:                              ;   in Loop: Header=BB4_312 Depth=2
	v_mov_b32_e32 v12, 0
	v_mov_b32_e32 v13, 0
.LBB4_318:                              ;   in Loop: Header=BB4_312 Depth=2
	s_mov_b64 s[0:1], s[14:15]
	s_mov_b32 s24, 0
	s_cbranch_execnz .LBB4_320
.LBB4_319:                              ;   in Loop: Header=BB4_312 Depth=2
	global_load_dwordx2 v[12:13], v2, s[14:15]
	s_add_i32 s24, s18, -8
.LBB4_320:                              ;   in Loop: Header=BB4_312 Depth=2
	s_add_u32 s20, s0, 8
	s_addc_u32 s21, s1, 0
	s_cmp_gt_u32 s24, 7
	s_cbranch_scc1 .LBB4_324
; %bb.321:                              ;   in Loop: Header=BB4_312 Depth=2
	s_cmp_eq_u32 s24, 0
	s_cbranch_scc1 .LBB4_325
; %bb.322:                              ;   in Loop: Header=BB4_312 Depth=2
	v_mov_b32_e32 v16, 0
	s_mov_b64 s[20:21], 0
	v_mov_b32_e32 v17, 0
	s_mov_b64 s[22:23], 0
.LBB4_323:                              ;   Parent Loop BB4_3 Depth=1
                                        ;     Parent Loop BB4_312 Depth=2
                                        ; =>    This Inner Loop Header: Depth=3
	s_add_u32 s26, s0, s22
	s_addc_u32 s27, s1, s23
	global_load_ubyte v1, v2, s[26:27]
	s_add_u32 s22, s22, 1
	s_addc_u32 s23, s23, 0
	s_waitcnt vmcnt(0)
	v_and_b32_e32 v1, 0xffff, v1
	v_lshlrev_b64 v[3:4], s20, v[1:2]
	s_add_u32 s20, s20, 8
	s_addc_u32 s21, s21, 0
	v_or_b32_e32 v16, v3, v16
	s_cmp_lg_u32 s24, s22
	v_or_b32_e32 v17, v4, v17
	s_cbranch_scc1 .LBB4_323
	s_branch .LBB4_326
.LBB4_324:                              ;   in Loop: Header=BB4_312 Depth=2
                                        ; implicit-def: $vgpr16_vgpr17
	s_mov_b32 s25, 0
	s_branch .LBB4_327
.LBB4_325:                              ;   in Loop: Header=BB4_312 Depth=2
	v_mov_b32_e32 v16, 0
	v_mov_b32_e32 v17, 0
.LBB4_326:                              ;   in Loop: Header=BB4_312 Depth=2
	s_mov_b64 s[20:21], s[0:1]
	s_mov_b32 s25, 0
	s_cbranch_execnz .LBB4_328
.LBB4_327:                              ;   in Loop: Header=BB4_312 Depth=2
	global_load_dwordx2 v[16:17], v2, s[0:1]
	s_add_i32 s25, s24, -8
.LBB4_328:                              ;   in Loop: Header=BB4_312 Depth=2
	s_add_u32 s0, s20, 8
	s_addc_u32 s1, s21, 0
	s_cmp_gt_u32 s25, 7
	s_cbranch_scc1 .LBB4_332
; %bb.329:                              ;   in Loop: Header=BB4_312 Depth=2
	s_cmp_eq_u32 s25, 0
	s_cbranch_scc1 .LBB4_333
; %bb.330:                              ;   in Loop: Header=BB4_312 Depth=2
	v_mov_b32_e32 v18, 0
	s_mov_b64 s[0:1], 0
	v_mov_b32_e32 v19, 0
	s_mov_b64 s[22:23], 0
.LBB4_331:                              ;   Parent Loop BB4_3 Depth=1
                                        ;     Parent Loop BB4_312 Depth=2
                                        ; =>    This Inner Loop Header: Depth=3
	s_add_u32 s26, s20, s22
	s_addc_u32 s27, s21, s23
	global_load_ubyte v1, v2, s[26:27]
	s_add_u32 s22, s22, 1
	s_addc_u32 s23, s23, 0
	s_waitcnt vmcnt(0)
	v_and_b32_e32 v1, 0xffff, v1
	v_lshlrev_b64 v[3:4], s0, v[1:2]
	s_add_u32 s0, s0, 8
	s_addc_u32 s1, s1, 0
	v_or_b32_e32 v18, v3, v18
	s_cmp_lg_u32 s25, s22
	v_or_b32_e32 v19, v4, v19
	s_cbranch_scc1 .LBB4_331
	s_branch .LBB4_334
.LBB4_332:                              ;   in Loop: Header=BB4_312 Depth=2
	s_mov_b32 s24, 0
	s_branch .LBB4_335
.LBB4_333:                              ;   in Loop: Header=BB4_312 Depth=2
	v_mov_b32_e32 v18, 0
	v_mov_b32_e32 v19, 0
.LBB4_334:                              ;   in Loop: Header=BB4_312 Depth=2
	s_mov_b64 s[0:1], s[20:21]
	s_mov_b32 s24, 0
	s_cbranch_execnz .LBB4_336
.LBB4_335:                              ;   in Loop: Header=BB4_312 Depth=2
	global_load_dwordx2 v[18:19], v2, s[20:21]
	s_add_i32 s24, s25, -8
.LBB4_336:                              ;   in Loop: Header=BB4_312 Depth=2
	s_add_u32 s20, s0, 8
	s_addc_u32 s21, s1, 0
	s_cmp_gt_u32 s24, 7
	s_cbranch_scc1 .LBB4_340
; %bb.337:                              ;   in Loop: Header=BB4_312 Depth=2
	s_cmp_eq_u32 s24, 0
	s_cbranch_scc1 .LBB4_341
; %bb.338:                              ;   in Loop: Header=BB4_312 Depth=2
	v_mov_b32_e32 v20, 0
	s_mov_b64 s[20:21], 0
	v_mov_b32_e32 v21, 0
	s_mov_b64 s[22:23], 0
.LBB4_339:                              ;   Parent Loop BB4_3 Depth=1
                                        ;     Parent Loop BB4_312 Depth=2
                                        ; =>    This Inner Loop Header: Depth=3
	s_add_u32 s26, s0, s22
	s_addc_u32 s27, s1, s23
	global_load_ubyte v1, v2, s[26:27]
	s_add_u32 s22, s22, 1
	s_addc_u32 s23, s23, 0
	s_waitcnt vmcnt(0)
	v_and_b32_e32 v1, 0xffff, v1
	v_lshlrev_b64 v[3:4], s20, v[1:2]
	s_add_u32 s20, s20, 8
	s_addc_u32 s21, s21, 0
	v_or_b32_e32 v20, v3, v20
	s_cmp_lg_u32 s24, s22
	v_or_b32_e32 v21, v4, v21
	s_cbranch_scc1 .LBB4_339
	s_branch .LBB4_342
.LBB4_340:                              ;   in Loop: Header=BB4_312 Depth=2
                                        ; implicit-def: $vgpr20_vgpr21
	s_mov_b32 s25, 0
	s_branch .LBB4_343
.LBB4_341:                              ;   in Loop: Header=BB4_312 Depth=2
	v_mov_b32_e32 v20, 0
	v_mov_b32_e32 v21, 0
.LBB4_342:                              ;   in Loop: Header=BB4_312 Depth=2
	s_mov_b64 s[20:21], s[0:1]
	s_mov_b32 s25, 0
	s_cbranch_execnz .LBB4_344
.LBB4_343:                              ;   in Loop: Header=BB4_312 Depth=2
	global_load_dwordx2 v[20:21], v2, s[0:1]
	s_add_i32 s25, s24, -8
.LBB4_344:                              ;   in Loop: Header=BB4_312 Depth=2
	s_add_u32 s0, s20, 8
	s_addc_u32 s1, s21, 0
	s_cmp_gt_u32 s25, 7
	s_cbranch_scc1 .LBB4_348
; %bb.345:                              ;   in Loop: Header=BB4_312 Depth=2
	s_cmp_eq_u32 s25, 0
	s_cbranch_scc1 .LBB4_349
; %bb.346:                              ;   in Loop: Header=BB4_312 Depth=2
	v_mov_b32_e32 v22, 0
	s_mov_b64 s[0:1], 0
	v_mov_b32_e32 v23, 0
	s_mov_b64 s[22:23], 0
.LBB4_347:                              ;   Parent Loop BB4_3 Depth=1
                                        ;     Parent Loop BB4_312 Depth=2
                                        ; =>    This Inner Loop Header: Depth=3
	s_add_u32 s26, s20, s22
	s_addc_u32 s27, s21, s23
	global_load_ubyte v1, v2, s[26:27]
	s_add_u32 s22, s22, 1
	s_addc_u32 s23, s23, 0
	s_waitcnt vmcnt(0)
	v_and_b32_e32 v1, 0xffff, v1
	v_lshlrev_b64 v[3:4], s0, v[1:2]
	s_add_u32 s0, s0, 8
	s_addc_u32 s1, s1, 0
	v_or_b32_e32 v22, v3, v22
	s_cmp_lg_u32 s25, s22
	v_or_b32_e32 v23, v4, v23
	s_cbranch_scc1 .LBB4_347
	s_branch .LBB4_350
.LBB4_348:                              ;   in Loop: Header=BB4_312 Depth=2
	s_mov_b32 s24, 0
	s_branch .LBB4_351
.LBB4_349:                              ;   in Loop: Header=BB4_312 Depth=2
	v_mov_b32_e32 v22, 0
	v_mov_b32_e32 v23, 0
.LBB4_350:                              ;   in Loop: Header=BB4_312 Depth=2
	s_mov_b64 s[0:1], s[20:21]
	s_mov_b32 s24, 0
	s_cbranch_execnz .LBB4_352
.LBB4_351:                              ;   in Loop: Header=BB4_312 Depth=2
	global_load_dwordx2 v[22:23], v2, s[20:21]
	s_add_i32 s24, s25, -8
.LBB4_352:                              ;   in Loop: Header=BB4_312 Depth=2
	s_add_u32 s20, s0, 8
	s_addc_u32 s21, s1, 0
	s_cmp_gt_u32 s24, 7
	s_cbranch_scc1 .LBB4_356
; %bb.353:                              ;   in Loop: Header=BB4_312 Depth=2
	s_cmp_eq_u32 s24, 0
	s_cbranch_scc1 .LBB4_357
; %bb.354:                              ;   in Loop: Header=BB4_312 Depth=2
	v_mov_b32_e32 v24, 0
	s_mov_b64 s[20:21], 0
	v_mov_b32_e32 v25, 0
	s_mov_b64 s[22:23], 0
.LBB4_355:                              ;   Parent Loop BB4_3 Depth=1
                                        ;     Parent Loop BB4_312 Depth=2
                                        ; =>    This Inner Loop Header: Depth=3
	s_add_u32 s26, s0, s22
	s_addc_u32 s27, s1, s23
	global_load_ubyte v1, v2, s[26:27]
	s_add_u32 s22, s22, 1
	s_addc_u32 s23, s23, 0
	s_waitcnt vmcnt(0)
	v_and_b32_e32 v1, 0xffff, v1
	v_lshlrev_b64 v[3:4], s20, v[1:2]
	s_add_u32 s20, s20, 8
	s_addc_u32 s21, s21, 0
	v_or_b32_e32 v24, v3, v24
	s_cmp_lg_u32 s24, s22
	v_or_b32_e32 v25, v4, v25
	s_cbranch_scc1 .LBB4_355
	s_branch .LBB4_358
.LBB4_356:                              ;   in Loop: Header=BB4_312 Depth=2
                                        ; implicit-def: $vgpr24_vgpr25
	s_mov_b32 s25, 0
	s_branch .LBB4_359
.LBB4_357:                              ;   in Loop: Header=BB4_312 Depth=2
	v_mov_b32_e32 v24, 0
	v_mov_b32_e32 v25, 0
.LBB4_358:                              ;   in Loop: Header=BB4_312 Depth=2
	s_mov_b64 s[20:21], s[0:1]
	s_mov_b32 s25, 0
	s_cbranch_execnz .LBB4_360
.LBB4_359:                              ;   in Loop: Header=BB4_312 Depth=2
	global_load_dwordx2 v[24:25], v2, s[0:1]
	s_add_i32 s25, s24, -8
.LBB4_360:                              ;   in Loop: Header=BB4_312 Depth=2
	s_cmp_gt_u32 s25, 7
	s_cbranch_scc1 .LBB4_364
; %bb.361:                              ;   in Loop: Header=BB4_312 Depth=2
	s_cmp_eq_u32 s25, 0
	s_cbranch_scc1 .LBB4_365
; %bb.362:                              ;   in Loop: Header=BB4_312 Depth=2
	v_mov_b32_e32 v26, 0
	s_mov_b64 s[0:1], 0
	v_mov_b32_e32 v27, 0
	s_mov_b64 s[22:23], s[20:21]
.LBB4_363:                              ;   Parent Loop BB4_3 Depth=1
                                        ;     Parent Loop BB4_312 Depth=2
                                        ; =>    This Inner Loop Header: Depth=3
	global_load_ubyte v1, v2, s[22:23]
	s_add_i32 s25, s25, -1
	s_waitcnt vmcnt(0)
	v_and_b32_e32 v1, 0xffff, v1
	v_lshlrev_b64 v[3:4], s0, v[1:2]
	s_add_u32 s0, s0, 8
	s_addc_u32 s1, s1, 0
	s_add_u32 s22, s22, 1
	s_addc_u32 s23, s23, 0
	v_or_b32_e32 v26, v3, v26
	s_cmp_lg_u32 s25, 0
	v_or_b32_e32 v27, v4, v27
	s_cbranch_scc1 .LBB4_363
	s_branch .LBB4_366
.LBB4_364:                              ;   in Loop: Header=BB4_312 Depth=2
	s_branch .LBB4_367
.LBB4_365:                              ;   in Loop: Header=BB4_312 Depth=2
	v_mov_b32_e32 v26, 0
	v_mov_b32_e32 v27, 0
.LBB4_366:                              ;   in Loop: Header=BB4_312 Depth=2
	s_cbranch_execnz .LBB4_368
.LBB4_367:                              ;   in Loop: Header=BB4_312 Depth=2
	global_load_dwordx2 v[26:27], v2, s[20:21]
.LBB4_368:                              ;   in Loop: Header=BB4_312 Depth=2
	v_readfirstlane_b32 s0, v40
	v_mov_b32_e32 v3, 0
	v_mov_b32_e32 v4, 0
	v_cmp_eq_u32_e64 s[0:1], s0, v40
	s_and_saveexec_b64 s[20:21], s[0:1]
	s_cbranch_execz .LBB4_374
; %bb.369:                              ;   in Loop: Header=BB4_312 Depth=2
	global_load_dwordx2 v[30:31], v2, s[2:3] offset:24 glc
	s_waitcnt vmcnt(0)
	buffer_wbinvl1_vol
	global_load_dwordx2 v[3:4], v2, s[2:3] offset:40
	global_load_dwordx2 v[7:8], v2, s[2:3]
	s_waitcnt vmcnt(1)
	v_and_b32_e32 v1, v3, v30
	v_and_b32_e32 v3, v4, v31
	v_mul_lo_u32 v3, v3, 24
	v_mul_hi_u32 v4, v1, 24
	v_mul_lo_u32 v1, v1, 24
	v_add_u32_e32 v4, v4, v3
	s_waitcnt vmcnt(0)
	v_add_co_u32_e32 v3, vcc, v7, v1
	v_addc_co_u32_e32 v4, vcc, v8, v4, vcc
	global_load_dwordx2 v[28:29], v[3:4], off glc
	s_waitcnt vmcnt(0)
	global_atomic_cmpswap_x2 v[3:4], v2, v[28:31], s[2:3] offset:24 glc
	s_waitcnt vmcnt(0)
	buffer_wbinvl1_vol
	v_cmp_ne_u64_e32 vcc, v[3:4], v[30:31]
	s_and_saveexec_b64 s[22:23], vcc
	s_cbranch_execz .LBB4_373
; %bb.370:                              ;   in Loop: Header=BB4_312 Depth=2
	s_mov_b64 s[24:25], 0
.LBB4_371:                              ;   Parent Loop BB4_3 Depth=1
                                        ;     Parent Loop BB4_312 Depth=2
                                        ; =>    This Inner Loop Header: Depth=3
	s_sleep 1
	global_load_dwordx2 v[7:8], v2, s[2:3] offset:40
	global_load_dwordx2 v[28:29], v2, s[2:3]
	v_mov_b32_e32 v31, v4
	v_mov_b32_e32 v30, v3
	s_waitcnt vmcnt(1)
	v_and_b32_e32 v1, v7, v30
	s_waitcnt vmcnt(0)
	v_mad_u64_u32 v[3:4], s[26:27], v1, 24, v[28:29]
	v_and_b32_e32 v7, v8, v31
	v_mov_b32_e32 v1, v4
	v_mad_u64_u32 v[7:8], s[26:27], v7, 24, v[1:2]
	v_mov_b32_e32 v4, v7
	global_load_dwordx2 v[28:29], v[3:4], off glc
	s_waitcnt vmcnt(0)
	global_atomic_cmpswap_x2 v[3:4], v2, v[28:31], s[2:3] offset:24 glc
	s_waitcnt vmcnt(0)
	buffer_wbinvl1_vol
	v_cmp_eq_u64_e32 vcc, v[3:4], v[30:31]
	s_or_b64 s[24:25], vcc, s[24:25]
	s_andn2_b64 exec, exec, s[24:25]
	s_cbranch_execnz .LBB4_371
; %bb.372:                              ;   in Loop: Header=BB4_312 Depth=2
	s_or_b64 exec, exec, s[24:25]
.LBB4_373:                              ;   in Loop: Header=BB4_312 Depth=2
	s_or_b64 exec, exec, s[22:23]
.LBB4_374:                              ;   in Loop: Header=BB4_312 Depth=2
	s_or_b64 exec, exec, s[20:21]
	global_load_dwordx2 v[7:8], v2, s[2:3] offset:40
	global_load_dwordx4 v[28:31], v2, s[2:3]
	v_readfirstlane_b32 s21, v4
	v_readfirstlane_b32 s20, v3
	s_mov_b64 s[22:23], exec
	s_waitcnt vmcnt(1)
	v_readfirstlane_b32 s24, v7
	v_readfirstlane_b32 s25, v8
	s_and_b64 s[24:25], s[24:25], s[20:21]
	s_mul_i32 s26, s25, 24
	s_mul_hi_u32 s27, s24, 24
	s_mul_i32 s33, s24, 24
	s_add_i32 s26, s27, s26
	v_mov_b32_e32 v1, s26
	s_waitcnt vmcnt(0)
	v_add_co_u32_e32 v7, vcc, s33, v28
	v_addc_co_u32_e32 v8, vcc, v29, v1, vcc
	s_and_saveexec_b64 s[26:27], s[0:1]
	s_cbranch_execz .LBB4_376
; %bb.375:                              ;   in Loop: Header=BB4_312 Depth=2
	v_mov_b32_e32 v3, s22
	v_mov_b32_e32 v4, s23
	global_store_dwordx4 v[7:8], v[3:6], off offset:8
.LBB4_376:                              ;   in Loop: Header=BB4_312 Depth=2
	s_or_b64 exec, exec, s[26:27]
	s_lshl_b64 s[22:23], s[24:25], 12
	v_mov_b32_e32 v1, s23
	v_add_co_u32_e32 v30, vcc, s22, v30
	v_addc_co_u32_e32 v31, vcc, v31, v1, vcc
	v_cmp_lt_u64_e64 vcc, s[16:17], 57
	s_lshl_b32 s22, s18, 2
	v_cndmask_b32_e32 v1, 0, v32, vcc
	s_add_i32 s22, s22, 28
	v_and_b32_e32 v3, 0xffffff1f, v10
	s_and_b32 s22, s22, 0x1e0
	v_or_b32_e32 v1, v3, v1
	v_or_b32_e32 v10, s22, v1
	v_readfirstlane_b32 s22, v30
	v_readfirstlane_b32 s23, v31
	s_nop 4
	global_store_dwordx4 v43, v[10:13], s[22:23]
	global_store_dwordx4 v43, v[16:19], s[22:23] offset:16
	global_store_dwordx4 v43, v[20:23], s[22:23] offset:32
	;; [unrolled: 1-line block ×3, first 2 shown]
	s_and_saveexec_b64 s[22:23], s[0:1]
	s_cbranch_execz .LBB4_384
; %bb.377:                              ;   in Loop: Header=BB4_312 Depth=2
	global_load_dwordx2 v[18:19], v2, s[2:3] offset:32 glc
	global_load_dwordx2 v[3:4], v2, s[2:3] offset:40
	v_mov_b32_e32 v16, s20
	v_mov_b32_e32 v17, s21
	s_waitcnt vmcnt(0)
	v_readfirstlane_b32 s24, v3
	v_readfirstlane_b32 s25, v4
	s_and_b64 s[24:25], s[24:25], s[20:21]
	s_mul_i32 s25, s25, 24
	s_mul_hi_u32 s26, s24, 24
	s_mul_i32 s24, s24, 24
	s_add_i32 s25, s26, s25
	v_mov_b32_e32 v1, s25
	v_add_co_u32_e32 v3, vcc, s24, v28
	v_addc_co_u32_e32 v4, vcc, v29, v1, vcc
	global_store_dwordx2 v[3:4], v[18:19], off
	s_waitcnt vmcnt(0)
	global_atomic_cmpswap_x2 v[12:13], v2, v[16:19], s[2:3] offset:32 glc
	s_waitcnt vmcnt(0)
	v_cmp_ne_u64_e32 vcc, v[12:13], v[18:19]
	s_and_saveexec_b64 s[24:25], vcc
	s_cbranch_execz .LBB4_380
; %bb.378:                              ;   in Loop: Header=BB4_312 Depth=2
	s_mov_b64 s[26:27], 0
.LBB4_379:                              ;   Parent Loop BB4_3 Depth=1
                                        ;     Parent Loop BB4_312 Depth=2
                                        ; =>    This Inner Loop Header: Depth=3
	s_sleep 1
	global_store_dwordx2 v[3:4], v[12:13], off
	v_mov_b32_e32 v10, s20
	v_mov_b32_e32 v11, s21
	s_waitcnt vmcnt(0)
	global_atomic_cmpswap_x2 v[10:11], v2, v[10:13], s[2:3] offset:32 glc
	s_waitcnt vmcnt(0)
	v_cmp_eq_u64_e32 vcc, v[10:11], v[12:13]
	v_mov_b32_e32 v13, v11
	s_or_b64 s[26:27], vcc, s[26:27]
	v_mov_b32_e32 v12, v10
	s_andn2_b64 exec, exec, s[26:27]
	s_cbranch_execnz .LBB4_379
.LBB4_380:                              ;   in Loop: Header=BB4_312 Depth=2
	s_or_b64 exec, exec, s[24:25]
	global_load_dwordx2 v[3:4], v2, s[2:3] offset:16
	s_mov_b64 s[26:27], exec
	v_mbcnt_lo_u32_b32 v1, s26, 0
	v_mbcnt_hi_u32_b32 v1, s27, v1
	v_cmp_eq_u32_e32 vcc, 0, v1
	s_and_saveexec_b64 s[24:25], vcc
	s_cbranch_execz .LBB4_382
; %bb.381:                              ;   in Loop: Header=BB4_312 Depth=2
	s_bcnt1_i32_b64 s26, s[26:27]
	v_mov_b32_e32 v1, s26
	s_waitcnt vmcnt(0)
	global_atomic_add_x2 v[3:4], v[1:2], off offset:8
.LBB4_382:                              ;   in Loop: Header=BB4_312 Depth=2
	s_or_b64 exec, exec, s[24:25]
	s_waitcnt vmcnt(0)
	global_load_dwordx2 v[10:11], v[3:4], off offset:16
	s_waitcnt vmcnt(0)
	v_cmp_eq_u64_e32 vcc, 0, v[10:11]
	s_cbranch_vccnz .LBB4_384
; %bb.383:                              ;   in Loop: Header=BB4_312 Depth=2
	global_load_dword v1, v[3:4], off offset:24
	s_waitcnt vmcnt(0)
	v_readfirstlane_b32 s24, v1
	s_and_b32 m0, s24, 0xffffff
	global_store_dwordx2 v[10:11], v[1:2], off
	s_sendmsg sendmsg(MSG_INTERRUPT)
.LBB4_384:                              ;   in Loop: Header=BB4_312 Depth=2
	s_or_b64 exec, exec, s[22:23]
	v_add_co_u32_e32 v3, vcc, v30, v43
	v_addc_co_u32_e32 v4, vcc, 0, v31, vcc
	s_branch .LBB4_388
.LBB4_385:                              ;   in Loop: Header=BB4_388 Depth=3
	s_or_b64 exec, exec, s[22:23]
	v_readfirstlane_b32 s22, v1
	s_cmp_eq_u32 s22, 0
	s_cbranch_scc1 .LBB4_387
; %bb.386:                              ;   in Loop: Header=BB4_388 Depth=3
	s_sleep 1
	s_cbranch_execnz .LBB4_388
	s_branch .LBB4_390
.LBB4_387:                              ;   in Loop: Header=BB4_312 Depth=2
	s_branch .LBB4_390
.LBB4_388:                              ;   Parent Loop BB4_3 Depth=1
                                        ;     Parent Loop BB4_312 Depth=2
                                        ; =>    This Inner Loop Header: Depth=3
	v_mov_b32_e32 v1, 1
	s_and_saveexec_b64 s[22:23], s[0:1]
	s_cbranch_execz .LBB4_385
; %bb.389:                              ;   in Loop: Header=BB4_388 Depth=3
	global_load_dword v1, v[7:8], off offset:20 glc
	s_waitcnt vmcnt(0)
	buffer_wbinvl1_vol
	v_and_b32_e32 v1, 1, v1
	s_branch .LBB4_385
.LBB4_390:                              ;   in Loop: Header=BB4_312 Depth=2
	global_load_dwordx2 v[10:11], v[3:4], off
	s_and_saveexec_b64 s[22:23], s[0:1]
	s_cbranch_execz .LBB4_311
; %bb.391:                              ;   in Loop: Header=BB4_312 Depth=2
	global_load_dwordx2 v[3:4], v2, s[2:3] offset:40
	global_load_dwordx2 v[20:21], v2, s[2:3] offset:24 glc
	global_load_dwordx2 v[7:8], v2, s[2:3]
	s_waitcnt vmcnt(2)
	v_readfirstlane_b32 s24, v3
	v_readfirstlane_b32 s25, v4
	s_add_u32 s26, s24, 1
	s_addc_u32 s27, s25, 0
	s_add_u32 s0, s26, s20
	s_addc_u32 s1, s27, s21
	s_cmp_eq_u64 s[0:1], 0
	s_cselect_b32 s1, s27, s1
	s_cselect_b32 s0, s26, s0
	s_and_b64 s[20:21], s[0:1], s[24:25]
	s_mul_i32 s21, s21, 24
	s_mul_hi_u32 s24, s20, 24
	s_mul_i32 s20, s20, 24
	s_add_i32 s21, s24, s21
	v_mov_b32_e32 v1, s21
	s_waitcnt vmcnt(0)
	v_add_co_u32_e32 v3, vcc, s20, v7
	v_addc_co_u32_e32 v4, vcc, v8, v1, vcc
	v_mov_b32_e32 v18, s0
	global_store_dwordx2 v[3:4], v[20:21], off
	v_mov_b32_e32 v19, s1
	s_waitcnt vmcnt(0)
	global_atomic_cmpswap_x2 v[18:19], v2, v[18:21], s[2:3] offset:24 glc
	s_waitcnt vmcnt(0)
	v_cmp_ne_u64_e32 vcc, v[18:19], v[20:21]
	s_and_b64 exec, exec, vcc
	s_cbranch_execz .LBB4_311
; %bb.392:                              ;   in Loop: Header=BB4_312 Depth=2
	s_mov_b64 s[20:21], 0
.LBB4_393:                              ;   Parent Loop BB4_3 Depth=1
                                        ;     Parent Loop BB4_312 Depth=2
                                        ; =>    This Inner Loop Header: Depth=3
	s_sleep 1
	global_store_dwordx2 v[3:4], v[18:19], off
	v_mov_b32_e32 v16, s0
	v_mov_b32_e32 v17, s1
	s_waitcnt vmcnt(0)
	global_atomic_cmpswap_x2 v[7:8], v2, v[16:19], s[2:3] offset:24 glc
	s_waitcnt vmcnt(0)
	v_cmp_eq_u64_e32 vcc, v[7:8], v[18:19]
	v_mov_b32_e32 v19, v8
	s_or_b64 s[20:21], vcc, s[20:21]
	v_mov_b32_e32 v18, v7
	s_andn2_b64 exec, exec, s[20:21]
	s_cbranch_execnz .LBB4_393
	s_branch .LBB4_311
.LBB4_394:                              ;   in Loop: Header=BB4_3 Depth=1
.LBB4_395:                              ;   in Loop: Header=BB4_3 Depth=1
	s_and_b64 vcc, exec, s[12:13]
	s_cbranch_vccz .LBB4_509
.LBB4_396:                              ;   in Loop: Header=BB4_3 Depth=1
	s_waitcnt vmcnt(0)
	v_and_b32_e32 v32, 2, v10
	v_and_b32_e32 v12, -3, v10
	v_mov_b32_e32 v13, v11
	s_mov_b64 s[16:17], 45
	s_getpc_b64 s[14:15]
	s_add_u32 s14, s14, .str.6@rel32@lo+4
	s_addc_u32 s15, s15, .str.6@rel32@hi+12
	s_branch .LBB4_398
.LBB4_397:                              ;   in Loop: Header=BB4_398 Depth=2
	s_or_b64 exec, exec, s[22:23]
	s_sub_u32 s16, s16, s18
	s_subb_u32 s17, s17, s19
	s_add_u32 s14, s14, s18
	s_addc_u32 s15, s15, s19
	s_cmp_lg_u64 s[16:17], 0
	s_cbranch_scc0 .LBB4_480
.LBB4_398:                              ;   Parent Loop BB4_3 Depth=1
                                        ; =>  This Loop Header: Depth=2
                                        ;       Child Loop BB4_401 Depth 3
                                        ;       Child Loop BB4_409 Depth 3
	;; [unrolled: 1-line block ×11, first 2 shown]
	v_cmp_lt_u64_e64 s[0:1], s[16:17], 56
	v_cmp_gt_u64_e64 s[20:21], s[16:17], 7
	s_and_b64 s[0:1], s[0:1], exec
	s_cselect_b32 s19, s17, 0
	s_cselect_b32 s18, s16, 56
	s_add_u32 s0, s14, 8
	s_addc_u32 s1, s15, 0
	s_and_b64 vcc, exec, s[20:21]
	s_cbranch_vccnz .LBB4_402
; %bb.399:                              ;   in Loop: Header=BB4_398 Depth=2
	s_cmp_eq_u64 s[16:17], 0
	s_cbranch_scc1 .LBB4_403
; %bb.400:                              ;   in Loop: Header=BB4_398 Depth=2
	v_mov_b32_e32 v14, 0
	s_lshl_b64 s[0:1], s[18:19], 3
	s_mov_b64 s[20:21], 0
	v_mov_b32_e32 v15, 0
	s_mov_b64 s[22:23], s[14:15]
.LBB4_401:                              ;   Parent Loop BB4_3 Depth=1
                                        ;     Parent Loop BB4_398 Depth=2
                                        ; =>    This Inner Loop Header: Depth=3
	global_load_ubyte v1, v2, s[22:23]
	s_waitcnt vmcnt(0)
	v_and_b32_e32 v1, 0xffff, v1
	v_lshlrev_b64 v[3:4], s20, v[1:2]
	s_add_u32 s20, s20, 8
	s_addc_u32 s21, s21, 0
	s_add_u32 s22, s22, 1
	s_addc_u32 s23, s23, 0
	v_or_b32_e32 v14, v3, v14
	s_cmp_lg_u32 s0, s20
	v_or_b32_e32 v15, v4, v15
	s_cbranch_scc1 .LBB4_401
	s_branch .LBB4_404
.LBB4_402:                              ;   in Loop: Header=BB4_398 Depth=2
	s_mov_b32 s24, 0
	s_branch .LBB4_405
.LBB4_403:                              ;   in Loop: Header=BB4_398 Depth=2
	v_mov_b32_e32 v14, 0
	v_mov_b32_e32 v15, 0
.LBB4_404:                              ;   in Loop: Header=BB4_398 Depth=2
	s_mov_b64 s[0:1], s[14:15]
	s_mov_b32 s24, 0
	s_cbranch_execnz .LBB4_406
.LBB4_405:                              ;   in Loop: Header=BB4_398 Depth=2
	global_load_dwordx2 v[14:15], v2, s[14:15]
	s_add_i32 s24, s18, -8
.LBB4_406:                              ;   in Loop: Header=BB4_398 Depth=2
	s_add_u32 s20, s0, 8
	s_addc_u32 s21, s1, 0
	s_cmp_gt_u32 s24, 7
	s_cbranch_scc1 .LBB4_410
; %bb.407:                              ;   in Loop: Header=BB4_398 Depth=2
	s_cmp_eq_u32 s24, 0
	s_cbranch_scc1 .LBB4_411
; %bb.408:                              ;   in Loop: Header=BB4_398 Depth=2
	v_mov_b32_e32 v16, 0
	s_mov_b64 s[20:21], 0
	v_mov_b32_e32 v17, 0
	s_mov_b64 s[22:23], 0
.LBB4_409:                              ;   Parent Loop BB4_3 Depth=1
                                        ;     Parent Loop BB4_398 Depth=2
                                        ; =>    This Inner Loop Header: Depth=3
	s_add_u32 s26, s0, s22
	s_addc_u32 s27, s1, s23
	global_load_ubyte v1, v2, s[26:27]
	s_add_u32 s22, s22, 1
	s_addc_u32 s23, s23, 0
	s_waitcnt vmcnt(0)
	v_and_b32_e32 v1, 0xffff, v1
	v_lshlrev_b64 v[3:4], s20, v[1:2]
	s_add_u32 s20, s20, 8
	s_addc_u32 s21, s21, 0
	v_or_b32_e32 v16, v3, v16
	s_cmp_lg_u32 s24, s22
	v_or_b32_e32 v17, v4, v17
	s_cbranch_scc1 .LBB4_409
	s_branch .LBB4_412
.LBB4_410:                              ;   in Loop: Header=BB4_398 Depth=2
                                        ; implicit-def: $vgpr16_vgpr17
	s_mov_b32 s25, 0
	s_branch .LBB4_413
.LBB4_411:                              ;   in Loop: Header=BB4_398 Depth=2
	v_mov_b32_e32 v16, 0
	v_mov_b32_e32 v17, 0
.LBB4_412:                              ;   in Loop: Header=BB4_398 Depth=2
	s_mov_b64 s[20:21], s[0:1]
	s_mov_b32 s25, 0
	s_cbranch_execnz .LBB4_414
.LBB4_413:                              ;   in Loop: Header=BB4_398 Depth=2
	global_load_dwordx2 v[16:17], v2, s[0:1]
	s_add_i32 s25, s24, -8
.LBB4_414:                              ;   in Loop: Header=BB4_398 Depth=2
	s_add_u32 s0, s20, 8
	s_addc_u32 s1, s21, 0
	s_cmp_gt_u32 s25, 7
	s_cbranch_scc1 .LBB4_418
; %bb.415:                              ;   in Loop: Header=BB4_398 Depth=2
	s_cmp_eq_u32 s25, 0
	s_cbranch_scc1 .LBB4_419
; %bb.416:                              ;   in Loop: Header=BB4_398 Depth=2
	v_mov_b32_e32 v18, 0
	s_mov_b64 s[0:1], 0
	v_mov_b32_e32 v19, 0
	s_mov_b64 s[22:23], 0
.LBB4_417:                              ;   Parent Loop BB4_3 Depth=1
                                        ;     Parent Loop BB4_398 Depth=2
                                        ; =>    This Inner Loop Header: Depth=3
	s_add_u32 s26, s20, s22
	s_addc_u32 s27, s21, s23
	global_load_ubyte v1, v2, s[26:27]
	s_add_u32 s22, s22, 1
	s_addc_u32 s23, s23, 0
	s_waitcnt vmcnt(0)
	v_and_b32_e32 v1, 0xffff, v1
	v_lshlrev_b64 v[3:4], s0, v[1:2]
	s_add_u32 s0, s0, 8
	s_addc_u32 s1, s1, 0
	v_or_b32_e32 v18, v3, v18
	s_cmp_lg_u32 s25, s22
	v_or_b32_e32 v19, v4, v19
	s_cbranch_scc1 .LBB4_417
	s_branch .LBB4_420
.LBB4_418:                              ;   in Loop: Header=BB4_398 Depth=2
	s_mov_b32 s24, 0
	s_branch .LBB4_421
.LBB4_419:                              ;   in Loop: Header=BB4_398 Depth=2
	v_mov_b32_e32 v18, 0
	v_mov_b32_e32 v19, 0
.LBB4_420:                              ;   in Loop: Header=BB4_398 Depth=2
	s_mov_b64 s[0:1], s[20:21]
	s_mov_b32 s24, 0
	s_cbranch_execnz .LBB4_422
.LBB4_421:                              ;   in Loop: Header=BB4_398 Depth=2
	global_load_dwordx2 v[18:19], v2, s[20:21]
	s_add_i32 s24, s25, -8
.LBB4_422:                              ;   in Loop: Header=BB4_398 Depth=2
	s_add_u32 s20, s0, 8
	s_addc_u32 s21, s1, 0
	s_cmp_gt_u32 s24, 7
	s_cbranch_scc1 .LBB4_426
; %bb.423:                              ;   in Loop: Header=BB4_398 Depth=2
	s_cmp_eq_u32 s24, 0
	s_cbranch_scc1 .LBB4_427
; %bb.424:                              ;   in Loop: Header=BB4_398 Depth=2
	v_mov_b32_e32 v20, 0
	s_mov_b64 s[20:21], 0
	v_mov_b32_e32 v21, 0
	s_mov_b64 s[22:23], 0
.LBB4_425:                              ;   Parent Loop BB4_3 Depth=1
                                        ;     Parent Loop BB4_398 Depth=2
                                        ; =>    This Inner Loop Header: Depth=3
	s_add_u32 s26, s0, s22
	s_addc_u32 s27, s1, s23
	global_load_ubyte v1, v2, s[26:27]
	s_add_u32 s22, s22, 1
	s_addc_u32 s23, s23, 0
	s_waitcnt vmcnt(0)
	v_and_b32_e32 v1, 0xffff, v1
	v_lshlrev_b64 v[3:4], s20, v[1:2]
	s_add_u32 s20, s20, 8
	s_addc_u32 s21, s21, 0
	v_or_b32_e32 v20, v3, v20
	s_cmp_lg_u32 s24, s22
	v_or_b32_e32 v21, v4, v21
	s_cbranch_scc1 .LBB4_425
	s_branch .LBB4_428
.LBB4_426:                              ;   in Loop: Header=BB4_398 Depth=2
                                        ; implicit-def: $vgpr20_vgpr21
	s_mov_b32 s25, 0
	s_branch .LBB4_429
.LBB4_427:                              ;   in Loop: Header=BB4_398 Depth=2
	v_mov_b32_e32 v20, 0
	v_mov_b32_e32 v21, 0
.LBB4_428:                              ;   in Loop: Header=BB4_398 Depth=2
	s_mov_b64 s[20:21], s[0:1]
	s_mov_b32 s25, 0
	s_cbranch_execnz .LBB4_430
.LBB4_429:                              ;   in Loop: Header=BB4_398 Depth=2
	global_load_dwordx2 v[20:21], v2, s[0:1]
	s_add_i32 s25, s24, -8
.LBB4_430:                              ;   in Loop: Header=BB4_398 Depth=2
	s_add_u32 s0, s20, 8
	s_addc_u32 s1, s21, 0
	s_cmp_gt_u32 s25, 7
	s_cbranch_scc1 .LBB4_434
; %bb.431:                              ;   in Loop: Header=BB4_398 Depth=2
	s_cmp_eq_u32 s25, 0
	s_cbranch_scc1 .LBB4_435
; %bb.432:                              ;   in Loop: Header=BB4_398 Depth=2
	v_mov_b32_e32 v22, 0
	s_mov_b64 s[0:1], 0
	v_mov_b32_e32 v23, 0
	s_mov_b64 s[22:23], 0
.LBB4_433:                              ;   Parent Loop BB4_3 Depth=1
                                        ;     Parent Loop BB4_398 Depth=2
                                        ; =>    This Inner Loop Header: Depth=3
	s_add_u32 s26, s20, s22
	s_addc_u32 s27, s21, s23
	global_load_ubyte v1, v2, s[26:27]
	s_add_u32 s22, s22, 1
	s_addc_u32 s23, s23, 0
	s_waitcnt vmcnt(0)
	v_and_b32_e32 v1, 0xffff, v1
	v_lshlrev_b64 v[3:4], s0, v[1:2]
	s_add_u32 s0, s0, 8
	s_addc_u32 s1, s1, 0
	v_or_b32_e32 v22, v3, v22
	s_cmp_lg_u32 s25, s22
	v_or_b32_e32 v23, v4, v23
	s_cbranch_scc1 .LBB4_433
	s_branch .LBB4_436
.LBB4_434:                              ;   in Loop: Header=BB4_398 Depth=2
	s_mov_b32 s24, 0
	s_branch .LBB4_437
.LBB4_435:                              ;   in Loop: Header=BB4_398 Depth=2
	v_mov_b32_e32 v22, 0
	v_mov_b32_e32 v23, 0
.LBB4_436:                              ;   in Loop: Header=BB4_398 Depth=2
	s_mov_b64 s[0:1], s[20:21]
	s_mov_b32 s24, 0
	s_cbranch_execnz .LBB4_438
.LBB4_437:                              ;   in Loop: Header=BB4_398 Depth=2
	global_load_dwordx2 v[22:23], v2, s[20:21]
	s_add_i32 s24, s25, -8
.LBB4_438:                              ;   in Loop: Header=BB4_398 Depth=2
	s_add_u32 s20, s0, 8
	s_addc_u32 s21, s1, 0
	s_cmp_gt_u32 s24, 7
	s_cbranch_scc1 .LBB4_442
; %bb.439:                              ;   in Loop: Header=BB4_398 Depth=2
	s_cmp_eq_u32 s24, 0
	s_cbranch_scc1 .LBB4_443
; %bb.440:                              ;   in Loop: Header=BB4_398 Depth=2
	v_mov_b32_e32 v24, 0
	s_mov_b64 s[20:21], 0
	v_mov_b32_e32 v25, 0
	s_mov_b64 s[22:23], 0
.LBB4_441:                              ;   Parent Loop BB4_3 Depth=1
                                        ;     Parent Loop BB4_398 Depth=2
                                        ; =>    This Inner Loop Header: Depth=3
	s_add_u32 s26, s0, s22
	s_addc_u32 s27, s1, s23
	global_load_ubyte v1, v2, s[26:27]
	s_add_u32 s22, s22, 1
	s_addc_u32 s23, s23, 0
	s_waitcnt vmcnt(0)
	v_and_b32_e32 v1, 0xffff, v1
	v_lshlrev_b64 v[3:4], s20, v[1:2]
	s_add_u32 s20, s20, 8
	s_addc_u32 s21, s21, 0
	v_or_b32_e32 v24, v3, v24
	s_cmp_lg_u32 s24, s22
	v_or_b32_e32 v25, v4, v25
	s_cbranch_scc1 .LBB4_441
	s_branch .LBB4_444
.LBB4_442:                              ;   in Loop: Header=BB4_398 Depth=2
                                        ; implicit-def: $vgpr24_vgpr25
	s_mov_b32 s25, 0
	s_branch .LBB4_445
.LBB4_443:                              ;   in Loop: Header=BB4_398 Depth=2
	v_mov_b32_e32 v24, 0
	v_mov_b32_e32 v25, 0
.LBB4_444:                              ;   in Loop: Header=BB4_398 Depth=2
	s_mov_b64 s[20:21], s[0:1]
	s_mov_b32 s25, 0
	s_cbranch_execnz .LBB4_446
.LBB4_445:                              ;   in Loop: Header=BB4_398 Depth=2
	global_load_dwordx2 v[24:25], v2, s[0:1]
	s_add_i32 s25, s24, -8
.LBB4_446:                              ;   in Loop: Header=BB4_398 Depth=2
	s_cmp_gt_u32 s25, 7
	s_cbranch_scc1 .LBB4_450
; %bb.447:                              ;   in Loop: Header=BB4_398 Depth=2
	s_cmp_eq_u32 s25, 0
	s_cbranch_scc1 .LBB4_451
; %bb.448:                              ;   in Loop: Header=BB4_398 Depth=2
	v_mov_b32_e32 v26, 0
	s_mov_b64 s[0:1], 0
	v_mov_b32_e32 v27, 0
	s_mov_b64 s[22:23], s[20:21]
.LBB4_449:                              ;   Parent Loop BB4_3 Depth=1
                                        ;     Parent Loop BB4_398 Depth=2
                                        ; =>    This Inner Loop Header: Depth=3
	global_load_ubyte v1, v2, s[22:23]
	s_add_i32 s25, s25, -1
	s_waitcnt vmcnt(0)
	v_and_b32_e32 v1, 0xffff, v1
	v_lshlrev_b64 v[3:4], s0, v[1:2]
	s_add_u32 s0, s0, 8
	s_addc_u32 s1, s1, 0
	s_add_u32 s22, s22, 1
	s_addc_u32 s23, s23, 0
	v_or_b32_e32 v26, v3, v26
	s_cmp_lg_u32 s25, 0
	v_or_b32_e32 v27, v4, v27
	s_cbranch_scc1 .LBB4_449
	s_branch .LBB4_452
.LBB4_450:                              ;   in Loop: Header=BB4_398 Depth=2
	s_branch .LBB4_453
.LBB4_451:                              ;   in Loop: Header=BB4_398 Depth=2
	v_mov_b32_e32 v26, 0
	v_mov_b32_e32 v27, 0
.LBB4_452:                              ;   in Loop: Header=BB4_398 Depth=2
	s_cbranch_execnz .LBB4_454
.LBB4_453:                              ;   in Loop: Header=BB4_398 Depth=2
	global_load_dwordx2 v[26:27], v2, s[20:21]
.LBB4_454:                              ;   in Loop: Header=BB4_398 Depth=2
	v_readfirstlane_b32 s0, v40
	v_mov_b32_e32 v3, 0
	v_mov_b32_e32 v4, 0
	v_cmp_eq_u32_e64 s[0:1], s0, v40
	s_and_saveexec_b64 s[20:21], s[0:1]
	s_cbranch_execz .LBB4_460
; %bb.455:                              ;   in Loop: Header=BB4_398 Depth=2
	global_load_dwordx2 v[30:31], v2, s[2:3] offset:24 glc
	s_waitcnt vmcnt(0)
	buffer_wbinvl1_vol
	global_load_dwordx2 v[3:4], v2, s[2:3] offset:40
	global_load_dwordx2 v[7:8], v2, s[2:3]
	s_waitcnt vmcnt(1)
	v_and_b32_e32 v1, v3, v30
	v_and_b32_e32 v3, v4, v31
	v_mul_lo_u32 v3, v3, 24
	v_mul_hi_u32 v4, v1, 24
	v_mul_lo_u32 v1, v1, 24
	v_add_u32_e32 v4, v4, v3
	s_waitcnt vmcnt(0)
	v_add_co_u32_e32 v3, vcc, v7, v1
	v_addc_co_u32_e32 v4, vcc, v8, v4, vcc
	global_load_dwordx2 v[28:29], v[3:4], off glc
	s_waitcnt vmcnt(0)
	global_atomic_cmpswap_x2 v[3:4], v2, v[28:31], s[2:3] offset:24 glc
	s_waitcnt vmcnt(0)
	buffer_wbinvl1_vol
	v_cmp_ne_u64_e32 vcc, v[3:4], v[30:31]
	s_and_saveexec_b64 s[22:23], vcc
	s_cbranch_execz .LBB4_459
; %bb.456:                              ;   in Loop: Header=BB4_398 Depth=2
	s_mov_b64 s[24:25], 0
.LBB4_457:                              ;   Parent Loop BB4_3 Depth=1
                                        ;     Parent Loop BB4_398 Depth=2
                                        ; =>    This Inner Loop Header: Depth=3
	s_sleep 1
	global_load_dwordx2 v[7:8], v2, s[2:3] offset:40
	global_load_dwordx2 v[28:29], v2, s[2:3]
	v_mov_b32_e32 v31, v4
	v_mov_b32_e32 v30, v3
	s_waitcnt vmcnt(1)
	v_and_b32_e32 v1, v7, v30
	s_waitcnt vmcnt(0)
	v_mad_u64_u32 v[3:4], s[26:27], v1, 24, v[28:29]
	v_and_b32_e32 v7, v8, v31
	v_mov_b32_e32 v1, v4
	v_mad_u64_u32 v[7:8], s[26:27], v7, 24, v[1:2]
	v_mov_b32_e32 v4, v7
	global_load_dwordx2 v[28:29], v[3:4], off glc
	s_waitcnt vmcnt(0)
	global_atomic_cmpswap_x2 v[3:4], v2, v[28:31], s[2:3] offset:24 glc
	s_waitcnt vmcnt(0)
	buffer_wbinvl1_vol
	v_cmp_eq_u64_e32 vcc, v[3:4], v[30:31]
	s_or_b64 s[24:25], vcc, s[24:25]
	s_andn2_b64 exec, exec, s[24:25]
	s_cbranch_execnz .LBB4_457
; %bb.458:                              ;   in Loop: Header=BB4_398 Depth=2
	s_or_b64 exec, exec, s[24:25]
.LBB4_459:                              ;   in Loop: Header=BB4_398 Depth=2
	s_or_b64 exec, exec, s[22:23]
.LBB4_460:                              ;   in Loop: Header=BB4_398 Depth=2
	s_or_b64 exec, exec, s[20:21]
	global_load_dwordx2 v[7:8], v2, s[2:3] offset:40
	global_load_dwordx4 v[28:31], v2, s[2:3]
	v_readfirstlane_b32 s21, v4
	v_readfirstlane_b32 s20, v3
	s_mov_b64 s[22:23], exec
	s_waitcnt vmcnt(1)
	v_readfirstlane_b32 s24, v7
	v_readfirstlane_b32 s25, v8
	s_and_b64 s[24:25], s[24:25], s[20:21]
	s_mul_i32 s26, s25, 24
	s_mul_hi_u32 s27, s24, 24
	s_mul_i32 s33, s24, 24
	s_add_i32 s26, s27, s26
	v_mov_b32_e32 v1, s26
	s_waitcnt vmcnt(0)
	v_add_co_u32_e32 v7, vcc, s33, v28
	v_addc_co_u32_e32 v8, vcc, v29, v1, vcc
	s_and_saveexec_b64 s[26:27], s[0:1]
	s_cbranch_execz .LBB4_462
; %bb.461:                              ;   in Loop: Header=BB4_398 Depth=2
	v_mov_b32_e32 v3, s22
	v_mov_b32_e32 v4, s23
	global_store_dwordx4 v[7:8], v[3:6], off offset:8
.LBB4_462:                              ;   in Loop: Header=BB4_398 Depth=2
	s_or_b64 exec, exec, s[26:27]
	s_lshl_b64 s[22:23], s[24:25], 12
	v_mov_b32_e32 v1, s23
	v_add_co_u32_e32 v30, vcc, s22, v30
	v_addc_co_u32_e32 v31, vcc, v31, v1, vcc
	v_cmp_lt_u64_e64 vcc, s[16:17], 57
	s_lshl_b32 s22, s18, 2
	v_cndmask_b32_e32 v1, 0, v32, vcc
	s_add_i32 s22, s22, 28
	v_and_b32_e32 v3, 0xffffff1f, v12
	s_and_b32 s22, s22, 0x1e0
	v_or_b32_e32 v1, v3, v1
	v_or_b32_e32 v12, s22, v1
	v_readfirstlane_b32 s22, v30
	v_readfirstlane_b32 s23, v31
	s_nop 4
	global_store_dwordx4 v43, v[12:15], s[22:23]
	global_store_dwordx4 v43, v[16:19], s[22:23] offset:16
	global_store_dwordx4 v43, v[20:23], s[22:23] offset:32
	;; [unrolled: 1-line block ×3, first 2 shown]
	s_and_saveexec_b64 s[22:23], s[0:1]
	s_cbranch_execz .LBB4_470
; %bb.463:                              ;   in Loop: Header=BB4_398 Depth=2
	global_load_dwordx2 v[16:17], v2, s[2:3] offset:32 glc
	global_load_dwordx2 v[3:4], v2, s[2:3] offset:40
	v_mov_b32_e32 v14, s20
	v_mov_b32_e32 v15, s21
	s_waitcnt vmcnt(0)
	v_readfirstlane_b32 s24, v3
	v_readfirstlane_b32 s25, v4
	s_and_b64 s[24:25], s[24:25], s[20:21]
	s_mul_i32 s25, s25, 24
	s_mul_hi_u32 s26, s24, 24
	s_mul_i32 s24, s24, 24
	s_add_i32 s25, s26, s25
	v_mov_b32_e32 v1, s25
	v_add_co_u32_e32 v3, vcc, s24, v28
	v_addc_co_u32_e32 v4, vcc, v29, v1, vcc
	global_store_dwordx2 v[3:4], v[16:17], off
	s_waitcnt vmcnt(0)
	global_atomic_cmpswap_x2 v[14:15], v2, v[14:17], s[2:3] offset:32 glc
	s_waitcnt vmcnt(0)
	v_cmp_ne_u64_e32 vcc, v[14:15], v[16:17]
	s_and_saveexec_b64 s[24:25], vcc
	s_cbranch_execz .LBB4_466
; %bb.464:                              ;   in Loop: Header=BB4_398 Depth=2
	s_mov_b64 s[26:27], 0
.LBB4_465:                              ;   Parent Loop BB4_3 Depth=1
                                        ;     Parent Loop BB4_398 Depth=2
                                        ; =>    This Inner Loop Header: Depth=3
	s_sleep 1
	global_store_dwordx2 v[3:4], v[14:15], off
	v_mov_b32_e32 v12, s20
	v_mov_b32_e32 v13, s21
	s_waitcnt vmcnt(0)
	global_atomic_cmpswap_x2 v[12:13], v2, v[12:15], s[2:3] offset:32 glc
	s_waitcnt vmcnt(0)
	v_cmp_eq_u64_e32 vcc, v[12:13], v[14:15]
	v_mov_b32_e32 v15, v13
	s_or_b64 s[26:27], vcc, s[26:27]
	v_mov_b32_e32 v14, v12
	s_andn2_b64 exec, exec, s[26:27]
	s_cbranch_execnz .LBB4_465
.LBB4_466:                              ;   in Loop: Header=BB4_398 Depth=2
	s_or_b64 exec, exec, s[24:25]
	global_load_dwordx2 v[3:4], v2, s[2:3] offset:16
	s_mov_b64 s[26:27], exec
	v_mbcnt_lo_u32_b32 v1, s26, 0
	v_mbcnt_hi_u32_b32 v1, s27, v1
	v_cmp_eq_u32_e32 vcc, 0, v1
	s_and_saveexec_b64 s[24:25], vcc
	s_cbranch_execz .LBB4_468
; %bb.467:                              ;   in Loop: Header=BB4_398 Depth=2
	s_bcnt1_i32_b64 s26, s[26:27]
	v_mov_b32_e32 v1, s26
	s_waitcnt vmcnt(0)
	global_atomic_add_x2 v[3:4], v[1:2], off offset:8
.LBB4_468:                              ;   in Loop: Header=BB4_398 Depth=2
	s_or_b64 exec, exec, s[24:25]
	s_waitcnt vmcnt(0)
	global_load_dwordx2 v[12:13], v[3:4], off offset:16
	s_waitcnt vmcnt(0)
	v_cmp_eq_u64_e32 vcc, 0, v[12:13]
	s_cbranch_vccnz .LBB4_470
; %bb.469:                              ;   in Loop: Header=BB4_398 Depth=2
	global_load_dword v1, v[3:4], off offset:24
	s_waitcnt vmcnt(0)
	v_readfirstlane_b32 s24, v1
	s_and_b32 m0, s24, 0xffffff
	global_store_dwordx2 v[12:13], v[1:2], off
	s_sendmsg sendmsg(MSG_INTERRUPT)
.LBB4_470:                              ;   in Loop: Header=BB4_398 Depth=2
	s_or_b64 exec, exec, s[22:23]
	v_add_co_u32_e32 v3, vcc, v30, v43
	v_addc_co_u32_e32 v4, vcc, 0, v31, vcc
	s_branch .LBB4_474
.LBB4_471:                              ;   in Loop: Header=BB4_474 Depth=3
	s_or_b64 exec, exec, s[22:23]
	v_readfirstlane_b32 s22, v1
	s_cmp_eq_u32 s22, 0
	s_cbranch_scc1 .LBB4_473
; %bb.472:                              ;   in Loop: Header=BB4_474 Depth=3
	s_sleep 1
	s_cbranch_execnz .LBB4_474
	s_branch .LBB4_476
.LBB4_473:                              ;   in Loop: Header=BB4_398 Depth=2
	s_branch .LBB4_476
.LBB4_474:                              ;   Parent Loop BB4_3 Depth=1
                                        ;     Parent Loop BB4_398 Depth=2
                                        ; =>    This Inner Loop Header: Depth=3
	v_mov_b32_e32 v1, 1
	s_and_saveexec_b64 s[22:23], s[0:1]
	s_cbranch_execz .LBB4_471
; %bb.475:                              ;   in Loop: Header=BB4_474 Depth=3
	global_load_dword v1, v[7:8], off offset:20 glc
	s_waitcnt vmcnt(0)
	buffer_wbinvl1_vol
	v_and_b32_e32 v1, 1, v1
	s_branch .LBB4_471
.LBB4_476:                              ;   in Loop: Header=BB4_398 Depth=2
	global_load_dwordx2 v[12:13], v[3:4], off
	s_and_saveexec_b64 s[22:23], s[0:1]
	s_cbranch_execz .LBB4_397
; %bb.477:                              ;   in Loop: Header=BB4_398 Depth=2
	global_load_dwordx2 v[3:4], v2, s[2:3] offset:40
	global_load_dwordx2 v[18:19], v2, s[2:3] offset:24 glc
	global_load_dwordx2 v[7:8], v2, s[2:3]
	s_waitcnt vmcnt(2)
	v_readfirstlane_b32 s24, v3
	v_readfirstlane_b32 s25, v4
	s_add_u32 s26, s24, 1
	s_addc_u32 s27, s25, 0
	s_add_u32 s0, s26, s20
	s_addc_u32 s1, s27, s21
	s_cmp_eq_u64 s[0:1], 0
	s_cselect_b32 s1, s27, s1
	s_cselect_b32 s0, s26, s0
	s_and_b64 s[20:21], s[0:1], s[24:25]
	s_mul_i32 s21, s21, 24
	s_mul_hi_u32 s24, s20, 24
	s_mul_i32 s20, s20, 24
	s_add_i32 s21, s24, s21
	v_mov_b32_e32 v1, s21
	s_waitcnt vmcnt(0)
	v_add_co_u32_e32 v3, vcc, s20, v7
	v_addc_co_u32_e32 v4, vcc, v8, v1, vcc
	v_mov_b32_e32 v16, s0
	global_store_dwordx2 v[3:4], v[18:19], off
	v_mov_b32_e32 v17, s1
	s_waitcnt vmcnt(0)
	global_atomic_cmpswap_x2 v[16:17], v2, v[16:19], s[2:3] offset:24 glc
	s_waitcnt vmcnt(0)
	v_cmp_ne_u64_e32 vcc, v[16:17], v[18:19]
	s_and_b64 exec, exec, vcc
	s_cbranch_execz .LBB4_397
; %bb.478:                              ;   in Loop: Header=BB4_398 Depth=2
	s_mov_b64 s[20:21], 0
.LBB4_479:                              ;   Parent Loop BB4_3 Depth=1
                                        ;     Parent Loop BB4_398 Depth=2
                                        ; =>    This Inner Loop Header: Depth=3
	s_sleep 1
	global_store_dwordx2 v[3:4], v[16:17], off
	v_mov_b32_e32 v14, s0
	v_mov_b32_e32 v15, s1
	s_waitcnt vmcnt(0)
	global_atomic_cmpswap_x2 v[7:8], v2, v[14:17], s[2:3] offset:24 glc
	s_waitcnt vmcnt(0)
	v_cmp_eq_u64_e32 vcc, v[7:8], v[16:17]
	v_mov_b32_e32 v17, v8
	s_or_b64 s[20:21], vcc, s[20:21]
	v_mov_b32_e32 v16, v7
	s_andn2_b64 exec, exec, s[20:21]
	s_cbranch_execnz .LBB4_479
	s_branch .LBB4_397
.LBB4_480:                              ;   in Loop: Header=BB4_3 Depth=1
	s_branch .LBB4_537
.LBB4_481:                              ;   in Loop: Header=BB4_3 Depth=1
                                        ; implicit-def: $vgpr10_vgpr11
	s_cbranch_execz .LBB4_395
; %bb.482:                              ;   in Loop: Header=BB4_3 Depth=1
	v_readfirstlane_b32 s0, v40
	v_mov_b32_e32 v3, 0
	v_mov_b32_e32 v4, 0
	v_cmp_eq_u32_e64 s[0:1], s0, v40
	s_and_saveexec_b64 s[14:15], s[0:1]
	s_cbranch_execz .LBB4_488
; %bb.483:                              ;   in Loop: Header=BB4_3 Depth=1
	global_load_dwordx2 v[12:13], v2, s[2:3] offset:24 glc
	s_waitcnt vmcnt(0)
	buffer_wbinvl1_vol
	global_load_dwordx2 v[3:4], v2, s[2:3] offset:40
	global_load_dwordx2 v[7:8], v2, s[2:3]
	s_waitcnt vmcnt(1)
	v_and_b32_e32 v1, v3, v12
	v_and_b32_e32 v3, v4, v13
	v_mul_lo_u32 v3, v3, 24
	v_mul_hi_u32 v4, v1, 24
	v_mul_lo_u32 v1, v1, 24
	v_add_u32_e32 v4, v4, v3
	s_waitcnt vmcnt(0)
	v_add_co_u32_e32 v3, vcc, v7, v1
	v_addc_co_u32_e32 v4, vcc, v8, v4, vcc
	global_load_dwordx2 v[10:11], v[3:4], off glc
	s_waitcnt vmcnt(0)
	global_atomic_cmpswap_x2 v[3:4], v2, v[10:13], s[2:3] offset:24 glc
	s_waitcnt vmcnt(0)
	buffer_wbinvl1_vol
	v_cmp_ne_u64_e32 vcc, v[3:4], v[12:13]
	s_and_saveexec_b64 s[16:17], vcc
	s_cbranch_execz .LBB4_487
; %bb.484:                              ;   in Loop: Header=BB4_3 Depth=1
	s_mov_b64 s[18:19], 0
.LBB4_485:                              ;   Parent Loop BB4_3 Depth=1
                                        ; =>  This Inner Loop Header: Depth=2
	s_sleep 1
	global_load_dwordx2 v[7:8], v2, s[2:3] offset:40
	global_load_dwordx2 v[10:11], v2, s[2:3]
	v_mov_b32_e32 v13, v4
	v_mov_b32_e32 v12, v3
	s_waitcnt vmcnt(1)
	v_and_b32_e32 v1, v7, v12
	s_waitcnt vmcnt(0)
	v_mad_u64_u32 v[3:4], s[20:21], v1, 24, v[10:11]
	v_and_b32_e32 v7, v8, v13
	v_mov_b32_e32 v1, v4
	v_mad_u64_u32 v[7:8], s[20:21], v7, 24, v[1:2]
	v_mov_b32_e32 v4, v7
	global_load_dwordx2 v[10:11], v[3:4], off glc
	s_waitcnt vmcnt(0)
	global_atomic_cmpswap_x2 v[3:4], v2, v[10:13], s[2:3] offset:24 glc
	s_waitcnt vmcnt(0)
	buffer_wbinvl1_vol
	v_cmp_eq_u64_e32 vcc, v[3:4], v[12:13]
	s_or_b64 s[18:19], vcc, s[18:19]
	s_andn2_b64 exec, exec, s[18:19]
	s_cbranch_execnz .LBB4_485
; %bb.486:                              ;   in Loop: Header=BB4_3 Depth=1
	s_or_b64 exec, exec, s[18:19]
.LBB4_487:                              ;   in Loop: Header=BB4_3 Depth=1
	s_or_b64 exec, exec, s[16:17]
.LBB4_488:                              ;   in Loop: Header=BB4_3 Depth=1
	s_or_b64 exec, exec, s[14:15]
	global_load_dwordx2 v[7:8], v2, s[2:3] offset:40
	global_load_dwordx4 v[10:13], v2, s[2:3]
	v_readfirstlane_b32 s15, v4
	v_readfirstlane_b32 s14, v3
	s_mov_b64 s[16:17], exec
	s_waitcnt vmcnt(1)
	v_readfirstlane_b32 s18, v7
	v_readfirstlane_b32 s19, v8
	s_and_b64 s[18:19], s[18:19], s[14:15]
	s_mul_i32 s20, s19, 24
	s_mul_hi_u32 s21, s18, 24
	s_mul_i32 s22, s18, 24
	s_add_i32 s20, s21, s20
	v_mov_b32_e32 v1, s20
	s_waitcnt vmcnt(0)
	v_add_co_u32_e32 v7, vcc, s22, v10
	v_addc_co_u32_e32 v8, vcc, v11, v1, vcc
	s_and_saveexec_b64 s[20:21], s[0:1]
	s_cbranch_execz .LBB4_490
; %bb.489:                              ;   in Loop: Header=BB4_3 Depth=1
	v_mov_b32_e32 v3, s16
	v_mov_b32_e32 v4, s17
	global_store_dwordx4 v[7:8], v[3:6], off offset:8
.LBB4_490:                              ;   in Loop: Header=BB4_3 Depth=1
	s_or_b64 exec, exec, s[20:21]
	s_lshl_b64 s[16:17], s[18:19], 12
	v_mov_b32_e32 v1, s17
	v_add_co_u32_e32 v18, vcc, s16, v12
	v_addc_co_u32_e32 v19, vcc, v13, v1, vcc
	v_and_or_b32 v14, v14, s29, 32
	v_mov_b32_e32 v16, v2
	v_mov_b32_e32 v17, v2
	v_readfirstlane_b32 s16, v18
	v_readfirstlane_b32 s17, v19
	s_nop 4
	global_store_dwordx4 v43, v[14:17], s[16:17]
	s_nop 0
	v_mov_b32_e32 v15, s11
	v_mov_b32_e32 v14, s10
	;; [unrolled: 1-line block ×4, first 2 shown]
	global_store_dwordx4 v43, v[12:15], s[16:17] offset:16
	global_store_dwordx4 v43, v[12:15], s[16:17] offset:32
	;; [unrolled: 1-line block ×3, first 2 shown]
	s_and_saveexec_b64 s[16:17], s[0:1]
	s_cbranch_execz .LBB4_498
; %bb.491:                              ;   in Loop: Header=BB4_3 Depth=1
	global_load_dwordx2 v[14:15], v2, s[2:3] offset:32 glc
	global_load_dwordx2 v[3:4], v2, s[2:3] offset:40
	v_mov_b32_e32 v12, s14
	v_mov_b32_e32 v13, s15
	s_waitcnt vmcnt(0)
	v_readfirstlane_b32 s18, v3
	v_readfirstlane_b32 s19, v4
	s_and_b64 s[18:19], s[18:19], s[14:15]
	s_mul_i32 s19, s19, 24
	s_mul_hi_u32 s20, s18, 24
	s_mul_i32 s18, s18, 24
	s_add_i32 s19, s20, s19
	v_mov_b32_e32 v1, s19
	v_add_co_u32_e32 v3, vcc, s18, v10
	v_addc_co_u32_e32 v4, vcc, v11, v1, vcc
	global_store_dwordx2 v[3:4], v[14:15], off
	s_waitcnt vmcnt(0)
	global_atomic_cmpswap_x2 v[12:13], v2, v[12:15], s[2:3] offset:32 glc
	s_waitcnt vmcnt(0)
	v_cmp_ne_u64_e32 vcc, v[12:13], v[14:15]
	s_and_saveexec_b64 s[18:19], vcc
	s_cbranch_execz .LBB4_494
; %bb.492:                              ;   in Loop: Header=BB4_3 Depth=1
	s_mov_b64 s[20:21], 0
.LBB4_493:                              ;   Parent Loop BB4_3 Depth=1
                                        ; =>  This Inner Loop Header: Depth=2
	s_sleep 1
	global_store_dwordx2 v[3:4], v[12:13], off
	v_mov_b32_e32 v10, s14
	v_mov_b32_e32 v11, s15
	s_waitcnt vmcnt(0)
	global_atomic_cmpswap_x2 v[10:11], v2, v[10:13], s[2:3] offset:32 glc
	s_waitcnt vmcnt(0)
	v_cmp_eq_u64_e32 vcc, v[10:11], v[12:13]
	v_mov_b32_e32 v13, v11
	s_or_b64 s[20:21], vcc, s[20:21]
	v_mov_b32_e32 v12, v10
	s_andn2_b64 exec, exec, s[20:21]
	s_cbranch_execnz .LBB4_493
.LBB4_494:                              ;   in Loop: Header=BB4_3 Depth=1
	s_or_b64 exec, exec, s[18:19]
	global_load_dwordx2 v[3:4], v2, s[2:3] offset:16
	s_mov_b64 s[20:21], exec
	v_mbcnt_lo_u32_b32 v1, s20, 0
	v_mbcnt_hi_u32_b32 v1, s21, v1
	v_cmp_eq_u32_e32 vcc, 0, v1
	s_and_saveexec_b64 s[18:19], vcc
	s_cbranch_execz .LBB4_496
; %bb.495:                              ;   in Loop: Header=BB4_3 Depth=1
	s_bcnt1_i32_b64 s20, s[20:21]
	v_mov_b32_e32 v1, s20
	s_waitcnt vmcnt(0)
	global_atomic_add_x2 v[3:4], v[1:2], off offset:8
.LBB4_496:                              ;   in Loop: Header=BB4_3 Depth=1
	s_or_b64 exec, exec, s[18:19]
	s_waitcnt vmcnt(0)
	global_load_dwordx2 v[10:11], v[3:4], off offset:16
	s_waitcnt vmcnt(0)
	v_cmp_eq_u64_e32 vcc, 0, v[10:11]
	s_cbranch_vccnz .LBB4_498
; %bb.497:                              ;   in Loop: Header=BB4_3 Depth=1
	global_load_dword v1, v[3:4], off offset:24
	s_waitcnt vmcnt(0)
	v_readfirstlane_b32 s18, v1
	s_and_b32 m0, s18, 0xffffff
	global_store_dwordx2 v[10:11], v[1:2], off
	s_sendmsg sendmsg(MSG_INTERRUPT)
.LBB4_498:                              ;   in Loop: Header=BB4_3 Depth=1
	s_or_b64 exec, exec, s[16:17]
	v_add_co_u32_e32 v3, vcc, v18, v43
	v_addc_co_u32_e32 v4, vcc, 0, v19, vcc
	s_branch .LBB4_502
.LBB4_499:                              ;   in Loop: Header=BB4_502 Depth=2
	s_or_b64 exec, exec, s[16:17]
	v_readfirstlane_b32 s16, v1
	s_cmp_eq_u32 s16, 0
	s_cbranch_scc1 .LBB4_501
; %bb.500:                              ;   in Loop: Header=BB4_502 Depth=2
	s_sleep 1
	s_cbranch_execnz .LBB4_502
	s_branch .LBB4_504
.LBB4_501:                              ;   in Loop: Header=BB4_3 Depth=1
	s_branch .LBB4_504
.LBB4_502:                              ;   Parent Loop BB4_3 Depth=1
                                        ; =>  This Inner Loop Header: Depth=2
	v_mov_b32_e32 v1, 1
	s_and_saveexec_b64 s[16:17], s[0:1]
	s_cbranch_execz .LBB4_499
; %bb.503:                              ;   in Loop: Header=BB4_502 Depth=2
	global_load_dword v1, v[7:8], off offset:20 glc
	s_waitcnt vmcnt(0)
	buffer_wbinvl1_vol
	v_and_b32_e32 v1, 1, v1
	s_branch .LBB4_499
.LBB4_504:                              ;   in Loop: Header=BB4_3 Depth=1
	global_load_dwordx2 v[10:11], v[3:4], off
	s_and_saveexec_b64 s[16:17], s[0:1]
	s_cbranch_execz .LBB4_508
; %bb.505:                              ;   in Loop: Header=BB4_3 Depth=1
	global_load_dwordx2 v[3:4], v2, s[2:3] offset:40
	global_load_dwordx2 v[16:17], v2, s[2:3] offset:24 glc
	global_load_dwordx2 v[7:8], v2, s[2:3]
	s_waitcnt vmcnt(2)
	v_readfirstlane_b32 s18, v3
	v_readfirstlane_b32 s19, v4
	s_add_u32 s20, s18, 1
	s_addc_u32 s21, s19, 0
	s_add_u32 s0, s20, s14
	s_addc_u32 s1, s21, s15
	s_cmp_eq_u64 s[0:1], 0
	s_cselect_b32 s1, s21, s1
	s_cselect_b32 s0, s20, s0
	s_and_b64 s[14:15], s[0:1], s[18:19]
	s_mul_i32 s15, s15, 24
	s_mul_hi_u32 s18, s14, 24
	s_mul_i32 s14, s14, 24
	s_add_i32 s15, s18, s15
	v_mov_b32_e32 v1, s15
	s_waitcnt vmcnt(0)
	v_add_co_u32_e32 v3, vcc, s14, v7
	v_addc_co_u32_e32 v4, vcc, v8, v1, vcc
	v_mov_b32_e32 v14, s0
	global_store_dwordx2 v[3:4], v[16:17], off
	v_mov_b32_e32 v15, s1
	s_waitcnt vmcnt(0)
	global_atomic_cmpswap_x2 v[14:15], v2, v[14:17], s[2:3] offset:24 glc
	s_waitcnt vmcnt(0)
	v_cmp_ne_u64_e32 vcc, v[14:15], v[16:17]
	s_and_b64 exec, exec, vcc
	s_cbranch_execz .LBB4_508
; %bb.506:                              ;   in Loop: Header=BB4_3 Depth=1
	s_mov_b64 s[14:15], 0
.LBB4_507:                              ;   Parent Loop BB4_3 Depth=1
                                        ; =>  This Inner Loop Header: Depth=2
	s_sleep 1
	global_store_dwordx2 v[3:4], v[14:15], off
	v_mov_b32_e32 v12, s0
	v_mov_b32_e32 v13, s1
	s_waitcnt vmcnt(0)
	global_atomic_cmpswap_x2 v[7:8], v2, v[12:15], s[2:3] offset:24 glc
	s_waitcnt vmcnt(0)
	v_cmp_eq_u64_e32 vcc, v[7:8], v[14:15]
	v_mov_b32_e32 v15, v8
	s_or_b64 s[14:15], vcc, s[14:15]
	v_mov_b32_e32 v14, v7
	s_andn2_b64 exec, exec, s[14:15]
	s_cbranch_execnz .LBB4_507
.LBB4_508:                              ;   in Loop: Header=BB4_3 Depth=1
	s_or_b64 exec, exec, s[16:17]
	s_and_b64 vcc, exec, s[12:13]
	s_cbranch_vccnz .LBB4_396
.LBB4_509:                              ;   in Loop: Header=BB4_3 Depth=1
                                        ; implicit-def: $vgpr12_vgpr13
	s_cbranch_execz .LBB4_537
; %bb.510:                              ;   in Loop: Header=BB4_3 Depth=1
	v_readfirstlane_b32 s0, v40
	v_mov_b32_e32 v3, 0
	v_mov_b32_e32 v4, 0
	v_cmp_eq_u32_e64 s[0:1], s0, v40
	s_and_saveexec_b64 s[14:15], s[0:1]
	s_cbranch_execz .LBB4_516
; %bb.511:                              ;   in Loop: Header=BB4_3 Depth=1
	global_load_dwordx2 v[14:15], v2, s[2:3] offset:24 glc
	s_waitcnt vmcnt(0)
	buffer_wbinvl1_vol
	global_load_dwordx2 v[3:4], v2, s[2:3] offset:40
	global_load_dwordx2 v[7:8], v2, s[2:3]
	s_waitcnt vmcnt(1)
	v_and_b32_e32 v1, v3, v14
	v_and_b32_e32 v3, v4, v15
	v_mul_lo_u32 v3, v3, 24
	v_mul_hi_u32 v4, v1, 24
	v_mul_lo_u32 v1, v1, 24
	v_add_u32_e32 v4, v4, v3
	s_waitcnt vmcnt(0)
	v_add_co_u32_e32 v3, vcc, v7, v1
	v_addc_co_u32_e32 v4, vcc, v8, v4, vcc
	global_load_dwordx2 v[12:13], v[3:4], off glc
	s_waitcnt vmcnt(0)
	global_atomic_cmpswap_x2 v[3:4], v2, v[12:15], s[2:3] offset:24 glc
	s_waitcnt vmcnt(0)
	buffer_wbinvl1_vol
	v_cmp_ne_u64_e32 vcc, v[3:4], v[14:15]
	s_and_saveexec_b64 s[16:17], vcc
	s_cbranch_execz .LBB4_515
; %bb.512:                              ;   in Loop: Header=BB4_3 Depth=1
	s_mov_b64 s[18:19], 0
.LBB4_513:                              ;   Parent Loop BB4_3 Depth=1
                                        ; =>  This Inner Loop Header: Depth=2
	s_sleep 1
	global_load_dwordx2 v[7:8], v2, s[2:3] offset:40
	global_load_dwordx2 v[12:13], v2, s[2:3]
	v_mov_b32_e32 v15, v4
	v_mov_b32_e32 v14, v3
	s_waitcnt vmcnt(1)
	v_and_b32_e32 v1, v7, v14
	s_waitcnt vmcnt(0)
	v_mad_u64_u32 v[3:4], s[20:21], v1, 24, v[12:13]
	v_and_b32_e32 v7, v8, v15
	v_mov_b32_e32 v1, v4
	v_mad_u64_u32 v[7:8], s[20:21], v7, 24, v[1:2]
	v_mov_b32_e32 v4, v7
	global_load_dwordx2 v[12:13], v[3:4], off glc
	s_waitcnt vmcnt(0)
	global_atomic_cmpswap_x2 v[3:4], v2, v[12:15], s[2:3] offset:24 glc
	s_waitcnt vmcnt(0)
	buffer_wbinvl1_vol
	v_cmp_eq_u64_e32 vcc, v[3:4], v[14:15]
	s_or_b64 s[18:19], vcc, s[18:19]
	s_andn2_b64 exec, exec, s[18:19]
	s_cbranch_execnz .LBB4_513
; %bb.514:                              ;   in Loop: Header=BB4_3 Depth=1
	s_or_b64 exec, exec, s[18:19]
.LBB4_515:                              ;   in Loop: Header=BB4_3 Depth=1
	s_or_b64 exec, exec, s[16:17]
.LBB4_516:                              ;   in Loop: Header=BB4_3 Depth=1
	s_or_b64 exec, exec, s[14:15]
	global_load_dwordx2 v[7:8], v2, s[2:3] offset:40
	global_load_dwordx4 v[14:17], v2, s[2:3]
	v_readfirstlane_b32 s15, v4
	v_readfirstlane_b32 s14, v3
	s_mov_b64 s[16:17], exec
	s_waitcnt vmcnt(1)
	v_readfirstlane_b32 s18, v7
	v_readfirstlane_b32 s19, v8
	s_and_b64 s[18:19], s[18:19], s[14:15]
	s_mul_i32 s20, s19, 24
	s_mul_hi_u32 s21, s18, 24
	s_mul_i32 s22, s18, 24
	s_add_i32 s20, s21, s20
	v_mov_b32_e32 v1, s20
	s_waitcnt vmcnt(0)
	v_add_co_u32_e32 v7, vcc, s22, v14
	v_addc_co_u32_e32 v8, vcc, v15, v1, vcc
	s_and_saveexec_b64 s[20:21], s[0:1]
	s_cbranch_execz .LBB4_518
; %bb.517:                              ;   in Loop: Header=BB4_3 Depth=1
	v_mov_b32_e32 v3, s16
	v_mov_b32_e32 v4, s17
	global_store_dwordx4 v[7:8], v[3:6], off offset:8
.LBB4_518:                              ;   in Loop: Header=BB4_3 Depth=1
	s_or_b64 exec, exec, s[20:21]
	s_lshl_b64 s[16:17], s[18:19], 12
	v_mov_b32_e32 v1, s17
	v_add_co_u32_e32 v16, vcc, s16, v16
	v_addc_co_u32_e32 v17, vcc, v17, v1, vcc
	v_and_or_b32 v10, v10, s29, 32
	v_mov_b32_e32 v12, v2
	v_mov_b32_e32 v13, v2
	v_readfirstlane_b32 s16, v16
	v_readfirstlane_b32 s17, v17
	s_nop 4
	global_store_dwordx4 v43, v[10:13], s[16:17]
	s_nop 0
	v_mov_b32_e32 v13, s11
	v_mov_b32_e32 v12, s10
	;; [unrolled: 1-line block ×4, first 2 shown]
	global_store_dwordx4 v43, v[10:13], s[16:17] offset:16
	global_store_dwordx4 v43, v[10:13], s[16:17] offset:32
	;; [unrolled: 1-line block ×3, first 2 shown]
	s_and_saveexec_b64 s[16:17], s[0:1]
	s_cbranch_execz .LBB4_526
; %bb.519:                              ;   in Loop: Header=BB4_3 Depth=1
	global_load_dwordx2 v[20:21], v2, s[2:3] offset:32 glc
	global_load_dwordx2 v[3:4], v2, s[2:3] offset:40
	v_mov_b32_e32 v18, s14
	v_mov_b32_e32 v19, s15
	s_waitcnt vmcnt(0)
	v_readfirstlane_b32 s18, v3
	v_readfirstlane_b32 s19, v4
	s_and_b64 s[18:19], s[18:19], s[14:15]
	s_mul_i32 s19, s19, 24
	s_mul_hi_u32 s20, s18, 24
	s_mul_i32 s18, s18, 24
	s_add_i32 s19, s20, s19
	v_mov_b32_e32 v1, s19
	v_add_co_u32_e32 v3, vcc, s18, v14
	v_addc_co_u32_e32 v4, vcc, v15, v1, vcc
	global_store_dwordx2 v[3:4], v[20:21], off
	s_waitcnt vmcnt(0)
	global_atomic_cmpswap_x2 v[12:13], v2, v[18:21], s[2:3] offset:32 glc
	s_waitcnt vmcnt(0)
	v_cmp_ne_u64_e32 vcc, v[12:13], v[20:21]
	s_and_saveexec_b64 s[18:19], vcc
	s_cbranch_execz .LBB4_522
; %bb.520:                              ;   in Loop: Header=BB4_3 Depth=1
	s_mov_b64 s[20:21], 0
.LBB4_521:                              ;   Parent Loop BB4_3 Depth=1
                                        ; =>  This Inner Loop Header: Depth=2
	s_sleep 1
	global_store_dwordx2 v[3:4], v[12:13], off
	v_mov_b32_e32 v10, s14
	v_mov_b32_e32 v11, s15
	s_waitcnt vmcnt(0)
	global_atomic_cmpswap_x2 v[10:11], v2, v[10:13], s[2:3] offset:32 glc
	s_waitcnt vmcnt(0)
	v_cmp_eq_u64_e32 vcc, v[10:11], v[12:13]
	v_mov_b32_e32 v13, v11
	s_or_b64 s[20:21], vcc, s[20:21]
	v_mov_b32_e32 v12, v10
	s_andn2_b64 exec, exec, s[20:21]
	s_cbranch_execnz .LBB4_521
.LBB4_522:                              ;   in Loop: Header=BB4_3 Depth=1
	s_or_b64 exec, exec, s[18:19]
	global_load_dwordx2 v[3:4], v2, s[2:3] offset:16
	s_mov_b64 s[20:21], exec
	v_mbcnt_lo_u32_b32 v1, s20, 0
	v_mbcnt_hi_u32_b32 v1, s21, v1
	v_cmp_eq_u32_e32 vcc, 0, v1
	s_and_saveexec_b64 s[18:19], vcc
	s_cbranch_execz .LBB4_524
; %bb.523:                              ;   in Loop: Header=BB4_3 Depth=1
	s_bcnt1_i32_b64 s20, s[20:21]
	v_mov_b32_e32 v1, s20
	s_waitcnt vmcnt(0)
	global_atomic_add_x2 v[3:4], v[1:2], off offset:8
.LBB4_524:                              ;   in Loop: Header=BB4_3 Depth=1
	s_or_b64 exec, exec, s[18:19]
	s_waitcnt vmcnt(0)
	global_load_dwordx2 v[10:11], v[3:4], off offset:16
	s_waitcnt vmcnt(0)
	v_cmp_eq_u64_e32 vcc, 0, v[10:11]
	s_cbranch_vccnz .LBB4_526
; %bb.525:                              ;   in Loop: Header=BB4_3 Depth=1
	global_load_dword v1, v[3:4], off offset:24
	s_waitcnt vmcnt(0)
	v_readfirstlane_b32 s18, v1
	s_and_b32 m0, s18, 0xffffff
	global_store_dwordx2 v[10:11], v[1:2], off
	s_sendmsg sendmsg(MSG_INTERRUPT)
.LBB4_526:                              ;   in Loop: Header=BB4_3 Depth=1
	s_or_b64 exec, exec, s[16:17]
	v_add_co_u32_e32 v3, vcc, v16, v43
	v_addc_co_u32_e32 v4, vcc, 0, v17, vcc
	s_branch .LBB4_530
.LBB4_527:                              ;   in Loop: Header=BB4_530 Depth=2
	s_or_b64 exec, exec, s[16:17]
	v_readfirstlane_b32 s16, v1
	s_cmp_eq_u32 s16, 0
	s_cbranch_scc1 .LBB4_529
; %bb.528:                              ;   in Loop: Header=BB4_530 Depth=2
	s_sleep 1
	s_cbranch_execnz .LBB4_530
	s_branch .LBB4_532
.LBB4_529:                              ;   in Loop: Header=BB4_3 Depth=1
	s_branch .LBB4_532
.LBB4_530:                              ;   Parent Loop BB4_3 Depth=1
                                        ; =>  This Inner Loop Header: Depth=2
	v_mov_b32_e32 v1, 1
	s_and_saveexec_b64 s[16:17], s[0:1]
	s_cbranch_execz .LBB4_527
; %bb.531:                              ;   in Loop: Header=BB4_530 Depth=2
	global_load_dword v1, v[7:8], off offset:20 glc
	s_waitcnt vmcnt(0)
	buffer_wbinvl1_vol
	v_and_b32_e32 v1, 1, v1
	s_branch .LBB4_527
.LBB4_532:                              ;   in Loop: Header=BB4_3 Depth=1
	global_load_dwordx2 v[12:13], v[3:4], off
	s_and_saveexec_b64 s[16:17], s[0:1]
	s_cbranch_execz .LBB4_536
; %bb.533:                              ;   in Loop: Header=BB4_3 Depth=1
	global_load_dwordx2 v[3:4], v2, s[2:3] offset:40
	global_load_dwordx2 v[18:19], v2, s[2:3] offset:24 glc
	global_load_dwordx2 v[7:8], v2, s[2:3]
	s_waitcnt vmcnt(2)
	v_readfirstlane_b32 s18, v3
	v_readfirstlane_b32 s19, v4
	s_add_u32 s20, s18, 1
	s_addc_u32 s21, s19, 0
	s_add_u32 s0, s20, s14
	s_addc_u32 s1, s21, s15
	s_cmp_eq_u64 s[0:1], 0
	s_cselect_b32 s1, s21, s1
	s_cselect_b32 s0, s20, s0
	s_and_b64 s[14:15], s[0:1], s[18:19]
	s_mul_i32 s15, s15, 24
	s_mul_hi_u32 s18, s14, 24
	s_mul_i32 s14, s14, 24
	s_add_i32 s15, s18, s15
	v_mov_b32_e32 v1, s15
	s_waitcnt vmcnt(0)
	v_add_co_u32_e32 v3, vcc, s14, v7
	v_addc_co_u32_e32 v4, vcc, v8, v1, vcc
	v_mov_b32_e32 v16, s0
	global_store_dwordx2 v[3:4], v[18:19], off
	v_mov_b32_e32 v17, s1
	s_waitcnt vmcnt(0)
	global_atomic_cmpswap_x2 v[16:17], v2, v[16:19], s[2:3] offset:24 glc
	s_waitcnt vmcnt(0)
	v_cmp_ne_u64_e32 vcc, v[16:17], v[18:19]
	s_and_b64 exec, exec, vcc
	s_cbranch_execz .LBB4_536
; %bb.534:                              ;   in Loop: Header=BB4_3 Depth=1
	s_mov_b64 s[14:15], 0
.LBB4_535:                              ;   Parent Loop BB4_3 Depth=1
                                        ; =>  This Inner Loop Header: Depth=2
	s_sleep 1
	global_store_dwordx2 v[3:4], v[16:17], off
	v_mov_b32_e32 v14, s0
	v_mov_b32_e32 v15, s1
	s_waitcnt vmcnt(0)
	global_atomic_cmpswap_x2 v[7:8], v2, v[14:17], s[2:3] offset:24 glc
	s_waitcnt vmcnt(0)
	v_cmp_eq_u64_e32 vcc, v[7:8], v[16:17]
	v_mov_b32_e32 v17, v8
	s_or_b64 s[14:15], vcc, s[14:15]
	v_mov_b32_e32 v16, v7
	s_andn2_b64 exec, exec, s[14:15]
	s_cbranch_execnz .LBB4_535
.LBB4_536:                              ;   in Loop: Header=BB4_3 Depth=1
	s_or_b64 exec, exec, s[16:17]
.LBB4_537:                              ;   in Loop: Header=BB4_3 Depth=1
	v_readfirstlane_b32 s0, v40
	v_mov_b32_e32 v3, 0
	v_mov_b32_e32 v4, 0
	v_cmp_eq_u32_e64 s[0:1], s0, v40
	s_and_saveexec_b64 s[14:15], s[0:1]
	s_cbranch_execz .LBB4_543
; %bb.538:                              ;   in Loop: Header=BB4_3 Depth=1
	global_load_dwordx2 v[16:17], v2, s[2:3] offset:24 glc
	s_waitcnt vmcnt(0)
	buffer_wbinvl1_vol
	global_load_dwordx2 v[3:4], v2, s[2:3] offset:40
	global_load_dwordx2 v[7:8], v2, s[2:3]
	s_waitcnt vmcnt(1)
	v_and_b32_e32 v1, v3, v16
	v_and_b32_e32 v3, v4, v17
	v_mul_lo_u32 v3, v3, 24
	v_mul_hi_u32 v4, v1, 24
	v_mul_lo_u32 v1, v1, 24
	v_add_u32_e32 v4, v4, v3
	s_waitcnt vmcnt(0)
	v_add_co_u32_e32 v3, vcc, v7, v1
	v_addc_co_u32_e32 v4, vcc, v8, v4, vcc
	global_load_dwordx2 v[14:15], v[3:4], off glc
	s_waitcnt vmcnt(0)
	global_atomic_cmpswap_x2 v[3:4], v2, v[14:17], s[2:3] offset:24 glc
	s_waitcnt vmcnt(0)
	buffer_wbinvl1_vol
	v_cmp_ne_u64_e32 vcc, v[3:4], v[16:17]
	s_and_saveexec_b64 s[16:17], vcc
	s_cbranch_execz .LBB4_542
; %bb.539:                              ;   in Loop: Header=BB4_3 Depth=1
	s_mov_b64 s[18:19], 0
.LBB4_540:                              ;   Parent Loop BB4_3 Depth=1
                                        ; =>  This Inner Loop Header: Depth=2
	s_sleep 1
	global_load_dwordx2 v[7:8], v2, s[2:3] offset:40
	global_load_dwordx2 v[10:11], v2, s[2:3]
	v_mov_b32_e32 v17, v4
	v_mov_b32_e32 v16, v3
	s_waitcnt vmcnt(1)
	v_and_b32_e32 v1, v7, v16
	s_waitcnt vmcnt(0)
	v_mad_u64_u32 v[3:4], s[20:21], v1, 24, v[10:11]
	v_and_b32_e32 v7, v8, v17
	v_mov_b32_e32 v1, v4
	v_mad_u64_u32 v[7:8], s[20:21], v7, 24, v[1:2]
	v_mov_b32_e32 v4, v7
	global_load_dwordx2 v[14:15], v[3:4], off glc
	s_waitcnt vmcnt(0)
	global_atomic_cmpswap_x2 v[3:4], v2, v[14:17], s[2:3] offset:24 glc
	s_waitcnt vmcnt(0)
	buffer_wbinvl1_vol
	v_cmp_eq_u64_e32 vcc, v[3:4], v[16:17]
	s_or_b64 s[18:19], vcc, s[18:19]
	s_andn2_b64 exec, exec, s[18:19]
	s_cbranch_execnz .LBB4_540
; %bb.541:                              ;   in Loop: Header=BB4_3 Depth=1
	s_or_b64 exec, exec, s[18:19]
.LBB4_542:                              ;   in Loop: Header=BB4_3 Depth=1
	s_or_b64 exec, exec, s[16:17]
.LBB4_543:                              ;   in Loop: Header=BB4_3 Depth=1
	s_or_b64 exec, exec, s[14:15]
	global_load_dwordx2 v[7:8], v2, s[2:3] offset:40
	global_load_dwordx4 v[16:19], v2, s[2:3]
	v_readfirstlane_b32 s15, v4
	v_readfirstlane_b32 s14, v3
	s_mov_b64 s[16:17], exec
	s_waitcnt vmcnt(1)
	v_readfirstlane_b32 s18, v7
	v_readfirstlane_b32 s19, v8
	s_and_b64 s[18:19], s[18:19], s[14:15]
	s_mul_i32 s20, s19, 24
	s_mul_hi_u32 s21, s18, 24
	s_mul_i32 s22, s18, 24
	s_add_i32 s20, s21, s20
	v_mov_b32_e32 v1, s20
	s_waitcnt vmcnt(0)
	v_add_co_u32_e32 v7, vcc, s22, v16
	v_addc_co_u32_e32 v8, vcc, v17, v1, vcc
	s_and_saveexec_b64 s[20:21], s[0:1]
	s_cbranch_execz .LBB4_545
; %bb.544:                              ;   in Loop: Header=BB4_3 Depth=1
	v_mov_b32_e32 v3, s16
	v_mov_b32_e32 v4, s17
	global_store_dwordx4 v[7:8], v[3:6], off offset:8
.LBB4_545:                              ;   in Loop: Header=BB4_3 Depth=1
	s_or_b64 exec, exec, s[20:21]
	s_lshl_b64 s[16:17], s[18:19], 12
	v_mov_b32_e32 v1, s17
	v_add_co_u32_e32 v18, vcc, s16, v18
	v_addc_co_u32_e32 v19, vcc, v19, v1, vcc
	v_add_u32_e32 v14, v9, v35
	v_and_or_b32 v12, v12, s30, 34
	v_mov_b32_e32 v15, v2
	v_readfirstlane_b32 s16, v18
	v_readfirstlane_b32 s17, v19
	s_nop 4
	global_store_dwordx4 v43, v[12:15], s[16:17]
	s_nop 0
	v_mov_b32_e32 v13, s11
	v_mov_b32_e32 v12, s10
	;; [unrolled: 1-line block ×4, first 2 shown]
	global_store_dwordx4 v43, v[10:13], s[16:17] offset:16
	global_store_dwordx4 v43, v[10:13], s[16:17] offset:32
	;; [unrolled: 1-line block ×3, first 2 shown]
	s_and_saveexec_b64 s[16:17], s[0:1]
	s_cbranch_execz .LBB4_553
; %bb.546:                              ;   in Loop: Header=BB4_3 Depth=1
	global_load_dwordx2 v[22:23], v2, s[2:3] offset:32 glc
	global_load_dwordx2 v[3:4], v2, s[2:3] offset:40
	v_mov_b32_e32 v20, s14
	v_mov_b32_e32 v21, s15
	s_waitcnt vmcnt(0)
	v_readfirstlane_b32 s18, v3
	v_readfirstlane_b32 s19, v4
	s_and_b64 s[18:19], s[18:19], s[14:15]
	s_mul_i32 s19, s19, 24
	s_mul_hi_u32 s20, s18, 24
	s_mul_i32 s18, s18, 24
	s_add_i32 s19, s20, s19
	v_mov_b32_e32 v1, s19
	v_add_co_u32_e32 v3, vcc, s18, v16
	v_addc_co_u32_e32 v4, vcc, v17, v1, vcc
	global_store_dwordx2 v[3:4], v[22:23], off
	s_waitcnt vmcnt(0)
	global_atomic_cmpswap_x2 v[12:13], v2, v[20:23], s[2:3] offset:32 glc
	s_waitcnt vmcnt(0)
	v_cmp_ne_u64_e32 vcc, v[12:13], v[22:23]
	s_and_saveexec_b64 s[18:19], vcc
	s_cbranch_execz .LBB4_549
; %bb.547:                              ;   in Loop: Header=BB4_3 Depth=1
	s_mov_b64 s[20:21], 0
.LBB4_548:                              ;   Parent Loop BB4_3 Depth=1
                                        ; =>  This Inner Loop Header: Depth=2
	s_sleep 1
	global_store_dwordx2 v[3:4], v[12:13], off
	v_mov_b32_e32 v10, s14
	v_mov_b32_e32 v11, s15
	s_waitcnt vmcnt(0)
	global_atomic_cmpswap_x2 v[10:11], v2, v[10:13], s[2:3] offset:32 glc
	s_waitcnt vmcnt(0)
	v_cmp_eq_u64_e32 vcc, v[10:11], v[12:13]
	v_mov_b32_e32 v13, v11
	s_or_b64 s[20:21], vcc, s[20:21]
	v_mov_b32_e32 v12, v10
	s_andn2_b64 exec, exec, s[20:21]
	s_cbranch_execnz .LBB4_548
.LBB4_549:                              ;   in Loop: Header=BB4_3 Depth=1
	s_or_b64 exec, exec, s[18:19]
	global_load_dwordx2 v[3:4], v2, s[2:3] offset:16
	s_mov_b64 s[20:21], exec
	v_mbcnt_lo_u32_b32 v1, s20, 0
	v_mbcnt_hi_u32_b32 v1, s21, v1
	v_cmp_eq_u32_e32 vcc, 0, v1
	s_and_saveexec_b64 s[18:19], vcc
	s_cbranch_execz .LBB4_551
; %bb.550:                              ;   in Loop: Header=BB4_3 Depth=1
	s_bcnt1_i32_b64 s20, s[20:21]
	v_mov_b32_e32 v1, s20
	s_waitcnt vmcnt(0)
	global_atomic_add_x2 v[3:4], v[1:2], off offset:8
.LBB4_551:                              ;   in Loop: Header=BB4_3 Depth=1
	s_or_b64 exec, exec, s[18:19]
	s_waitcnt vmcnt(0)
	global_load_dwordx2 v[10:11], v[3:4], off offset:16
	s_waitcnt vmcnt(0)
	v_cmp_eq_u64_e32 vcc, 0, v[10:11]
	s_cbranch_vccnz .LBB4_553
; %bb.552:                              ;   in Loop: Header=BB4_3 Depth=1
	global_load_dword v1, v[3:4], off offset:24
	s_waitcnt vmcnt(0)
	v_readfirstlane_b32 s18, v1
	s_and_b32 m0, s18, 0xffffff
	global_store_dwordx2 v[10:11], v[1:2], off
	s_sendmsg sendmsg(MSG_INTERRUPT)
.LBB4_553:                              ;   in Loop: Header=BB4_3 Depth=1
	s_or_b64 exec, exec, s[16:17]
	v_add_co_u32_e32 v3, vcc, v18, v43
	v_addc_co_u32_e32 v4, vcc, 0, v19, vcc
	s_branch .LBB4_557
.LBB4_554:                              ;   in Loop: Header=BB4_557 Depth=2
	s_or_b64 exec, exec, s[16:17]
	v_readfirstlane_b32 s16, v1
	s_cmp_eq_u32 s16, 0
	s_cbranch_scc1 .LBB4_556
; %bb.555:                              ;   in Loop: Header=BB4_557 Depth=2
	s_sleep 1
	s_cbranch_execnz .LBB4_557
	s_branch .LBB4_559
.LBB4_556:                              ;   in Loop: Header=BB4_3 Depth=1
	s_branch .LBB4_559
.LBB4_557:                              ;   Parent Loop BB4_3 Depth=1
                                        ; =>  This Inner Loop Header: Depth=2
	v_mov_b32_e32 v1, 1
	s_and_saveexec_b64 s[16:17], s[0:1]
	s_cbranch_execz .LBB4_554
; %bb.558:                              ;   in Loop: Header=BB4_557 Depth=2
	global_load_dword v1, v[7:8], off offset:20 glc
	s_waitcnt vmcnt(0)
	buffer_wbinvl1_vol
	v_and_b32_e32 v1, 1, v1
	s_branch .LBB4_554
.LBB4_559:                              ;   in Loop: Header=BB4_3 Depth=1
	global_load_dwordx2 v[37:38], v[3:4], off
	s_and_saveexec_b64 s[16:17], s[0:1]
	s_cbranch_execz .LBB4_563
; %bb.560:                              ;   in Loop: Header=BB4_3 Depth=1
	global_load_dwordx2 v[3:4], v2, s[2:3] offset:40
	global_load_dwordx2 v[17:18], v2, s[2:3] offset:24 glc
	global_load_dwordx2 v[7:8], v2, s[2:3]
	s_waitcnt vmcnt(2)
	v_readfirstlane_b32 s18, v3
	v_readfirstlane_b32 s19, v4
	s_add_u32 s20, s18, 1
	s_addc_u32 s21, s19, 0
	s_add_u32 s0, s20, s14
	s_addc_u32 s1, s21, s15
	s_cmp_eq_u64 s[0:1], 0
	s_cselect_b32 s1, s21, s1
	s_cselect_b32 s0, s20, s0
	s_and_b64 s[14:15], s[0:1], s[18:19]
	s_mul_i32 s15, s15, 24
	s_mul_hi_u32 s18, s14, 24
	s_mul_i32 s14, s14, 24
	s_add_i32 s15, s18, s15
	v_mov_b32_e32 v1, s15
	s_waitcnt vmcnt(0)
	v_add_co_u32_e32 v3, vcc, s14, v7
	v_addc_co_u32_e32 v4, vcc, v8, v1, vcc
	v_mov_b32_e32 v15, s0
	global_store_dwordx2 v[3:4], v[17:18], off
	v_mov_b32_e32 v16, s1
	s_waitcnt vmcnt(0)
	global_atomic_cmpswap_x2 v[12:13], v2, v[15:18], s[2:3] offset:24 glc
	s_waitcnt vmcnt(0)
	v_cmp_ne_u64_e32 vcc, v[12:13], v[17:18]
	s_and_b64 exec, exec, vcc
	s_cbranch_execz .LBB4_563
; %bb.561:                              ;   in Loop: Header=BB4_3 Depth=1
	s_mov_b64 s[14:15], 0
.LBB4_562:                              ;   Parent Loop BB4_3 Depth=1
                                        ; =>  This Inner Loop Header: Depth=2
	s_sleep 1
	global_store_dwordx2 v[3:4], v[12:13], off
	v_mov_b32_e32 v10, s0
	v_mov_b32_e32 v11, s1
	s_waitcnt vmcnt(0)
	global_atomic_cmpswap_x2 v[7:8], v2, v[10:13], s[2:3] offset:24 glc
	s_waitcnt vmcnt(0)
	v_cmp_eq_u64_e32 vcc, v[7:8], v[12:13]
	v_mov_b32_e32 v13, v8
	s_or_b64 s[14:15], vcc, s[14:15]
	v_mov_b32_e32 v12, v7
	s_andn2_b64 exec, exec, s[14:15]
	s_cbranch_execnz .LBB4_562
.LBB4_563:                              ;   in Loop: Header=BB4_3 Depth=1
	s_or_b64 exec, exec, s[16:17]
	v_readfirstlane_b32 s0, v40
	v_mov_b32_e32 v3, 0
	v_mov_b32_e32 v4, 0
	v_cmp_eq_u32_e64 s[0:1], s0, v40
	s_and_saveexec_b64 s[14:15], s[0:1]
	s_cbranch_execz .LBB4_569
; %bb.564:                              ;   in Loop: Header=BB4_3 Depth=1
	global_load_dwordx2 v[12:13], v2, s[2:3] offset:24 glc
	s_waitcnt vmcnt(0)
	buffer_wbinvl1_vol
	global_load_dwordx2 v[3:4], v2, s[2:3] offset:40
	global_load_dwordx2 v[7:8], v2, s[2:3]
	s_waitcnt vmcnt(1)
	v_and_b32_e32 v1, v3, v12
	v_and_b32_e32 v3, v4, v13
	v_mul_lo_u32 v3, v3, 24
	v_mul_hi_u32 v4, v1, 24
	v_mul_lo_u32 v1, v1, 24
	v_add_u32_e32 v4, v4, v3
	s_waitcnt vmcnt(0)
	v_add_co_u32_e32 v3, vcc, v7, v1
	v_addc_co_u32_e32 v4, vcc, v8, v4, vcc
	global_load_dwordx2 v[10:11], v[3:4], off glc
	s_waitcnt vmcnt(0)
	global_atomic_cmpswap_x2 v[3:4], v2, v[10:13], s[2:3] offset:24 glc
	s_waitcnt vmcnt(0)
	buffer_wbinvl1_vol
	v_cmp_ne_u64_e32 vcc, v[3:4], v[12:13]
	s_and_saveexec_b64 s[16:17], vcc
	s_cbranch_execz .LBB4_568
; %bb.565:                              ;   in Loop: Header=BB4_3 Depth=1
	s_mov_b64 s[18:19], 0
.LBB4_566:                              ;   Parent Loop BB4_3 Depth=1
                                        ; =>  This Inner Loop Header: Depth=2
	s_sleep 1
	global_load_dwordx2 v[7:8], v2, s[2:3] offset:40
	global_load_dwordx2 v[10:11], v2, s[2:3]
	v_mov_b32_e32 v13, v4
	v_mov_b32_e32 v12, v3
	s_waitcnt vmcnt(1)
	v_and_b32_e32 v1, v7, v12
	s_waitcnt vmcnt(0)
	v_mad_u64_u32 v[3:4], s[20:21], v1, 24, v[10:11]
	v_and_b32_e32 v7, v8, v13
	v_mov_b32_e32 v1, v4
	v_mad_u64_u32 v[7:8], s[20:21], v7, 24, v[1:2]
	v_mov_b32_e32 v4, v7
	global_load_dwordx2 v[10:11], v[3:4], off glc
	s_waitcnt vmcnt(0)
	global_atomic_cmpswap_x2 v[3:4], v2, v[10:13], s[2:3] offset:24 glc
	s_waitcnt vmcnt(0)
	buffer_wbinvl1_vol
	v_cmp_eq_u64_e32 vcc, v[3:4], v[12:13]
	s_or_b64 s[18:19], vcc, s[18:19]
	s_andn2_b64 exec, exec, s[18:19]
	s_cbranch_execnz .LBB4_566
; %bb.567:                              ;   in Loop: Header=BB4_3 Depth=1
	s_or_b64 exec, exec, s[18:19]
.LBB4_568:                              ;   in Loop: Header=BB4_3 Depth=1
	s_or_b64 exec, exec, s[16:17]
.LBB4_569:                              ;   in Loop: Header=BB4_3 Depth=1
	s_or_b64 exec, exec, s[14:15]
	global_load_dwordx2 v[7:8], v2, s[2:3] offset:40
	global_load_dwordx4 v[10:13], v2, s[2:3]
	v_readfirstlane_b32 s15, v4
	v_readfirstlane_b32 s14, v3
	s_mov_b64 s[16:17], exec
	s_waitcnt vmcnt(1)
	v_readfirstlane_b32 s18, v7
	v_readfirstlane_b32 s19, v8
	s_and_b64 s[18:19], s[18:19], s[14:15]
	s_mul_i32 s20, s19, 24
	s_mul_hi_u32 s21, s18, 24
	s_mul_i32 s22, s18, 24
	s_add_i32 s20, s21, s20
	v_mov_b32_e32 v1, s20
	s_waitcnt vmcnt(0)
	v_add_co_u32_e32 v7, vcc, s22, v10
	v_addc_co_u32_e32 v8, vcc, v11, v1, vcc
	s_and_saveexec_b64 s[20:21], s[0:1]
	s_cbranch_execz .LBB4_571
; %bb.570:                              ;   in Loop: Header=BB4_3 Depth=1
	v_mov_b32_e32 v3, s16
	v_mov_b32_e32 v4, s17
	global_store_dwordx4 v[7:8], v[3:6], off offset:8
.LBB4_571:                              ;   in Loop: Header=BB4_3 Depth=1
	s_or_b64 exec, exec, s[20:21]
	s_lshl_b64 s[16:17], s[18:19], 12
	v_mov_b32_e32 v1, s17
	v_add_co_u32_e32 v15, vcc, s16, v12
	v_addc_co_u32_e32 v16, vcc, v13, v1, vcc
	v_mov_b32_e32 v20, s11
	v_mov_b32_e32 v1, v2
	;; [unrolled: 1-line block ×3, first 2 shown]
	v_readfirstlane_b32 s16, v15
	v_readfirstlane_b32 s17, v16
	v_mov_b32_e32 v19, s10
	v_mov_b32_e32 v18, s9
	;; [unrolled: 1-line block ×3, first 2 shown]
	s_nop 1
	global_store_dwordx4 v43, v[0:3], s[16:17]
	global_store_dwordx4 v43, v[17:20], s[16:17] offset:16
	global_store_dwordx4 v43, v[17:20], s[16:17] offset:32
	;; [unrolled: 1-line block ×3, first 2 shown]
	s_and_saveexec_b64 s[16:17], s[0:1]
	s_cbranch_execz .LBB4_579
; %bb.572:                              ;   in Loop: Header=BB4_3 Depth=1
	global_load_dwordx2 v[19:20], v2, s[2:3] offset:32 glc
	global_load_dwordx2 v[3:4], v2, s[2:3] offset:40
	v_mov_b32_e32 v17, s14
	v_mov_b32_e32 v18, s15
	s_waitcnt vmcnt(0)
	v_readfirstlane_b32 s18, v3
	v_readfirstlane_b32 s19, v4
	s_and_b64 s[18:19], s[18:19], s[14:15]
	s_mul_i32 s19, s19, 24
	s_mul_hi_u32 s20, s18, 24
	s_mul_i32 s18, s18, 24
	s_add_i32 s19, s20, s19
	v_mov_b32_e32 v1, s19
	v_add_co_u32_e32 v3, vcc, s18, v10
	v_addc_co_u32_e32 v4, vcc, v11, v1, vcc
	global_store_dwordx2 v[3:4], v[19:20], off
	s_waitcnt vmcnt(0)
	global_atomic_cmpswap_x2 v[12:13], v2, v[17:20], s[2:3] offset:32 glc
	s_waitcnt vmcnt(0)
	v_cmp_ne_u64_e32 vcc, v[12:13], v[19:20]
	s_and_saveexec_b64 s[18:19], vcc
	s_cbranch_execz .LBB4_575
; %bb.573:                              ;   in Loop: Header=BB4_3 Depth=1
	s_mov_b64 s[20:21], 0
.LBB4_574:                              ;   Parent Loop BB4_3 Depth=1
                                        ; =>  This Inner Loop Header: Depth=2
	s_sleep 1
	global_store_dwordx2 v[3:4], v[12:13], off
	v_mov_b32_e32 v10, s14
	v_mov_b32_e32 v11, s15
	s_waitcnt vmcnt(0)
	global_atomic_cmpswap_x2 v[10:11], v2, v[10:13], s[2:3] offset:32 glc
	s_waitcnt vmcnt(0)
	v_cmp_eq_u64_e32 vcc, v[10:11], v[12:13]
	v_mov_b32_e32 v13, v11
	s_or_b64 s[20:21], vcc, s[20:21]
	v_mov_b32_e32 v12, v10
	s_andn2_b64 exec, exec, s[20:21]
	s_cbranch_execnz .LBB4_574
.LBB4_575:                              ;   in Loop: Header=BB4_3 Depth=1
	s_or_b64 exec, exec, s[18:19]
	global_load_dwordx2 v[3:4], v2, s[2:3] offset:16
	s_mov_b64 s[20:21], exec
	v_mbcnt_lo_u32_b32 v1, s20, 0
	v_mbcnt_hi_u32_b32 v1, s21, v1
	v_cmp_eq_u32_e32 vcc, 0, v1
	s_and_saveexec_b64 s[18:19], vcc
	s_cbranch_execz .LBB4_577
; %bb.576:                              ;   in Loop: Header=BB4_3 Depth=1
	s_bcnt1_i32_b64 s20, s[20:21]
	v_mov_b32_e32 v1, s20
	s_waitcnt vmcnt(0)
	global_atomic_add_x2 v[3:4], v[1:2], off offset:8
.LBB4_577:                              ;   in Loop: Header=BB4_3 Depth=1
	s_or_b64 exec, exec, s[18:19]
	s_waitcnt vmcnt(0)
	global_load_dwordx2 v[10:11], v[3:4], off offset:16
	s_waitcnt vmcnt(0)
	v_cmp_eq_u64_e32 vcc, 0, v[10:11]
	s_cbranch_vccnz .LBB4_579
; %bb.578:                              ;   in Loop: Header=BB4_3 Depth=1
	global_load_dword v1, v[3:4], off offset:24
	s_waitcnt vmcnt(0)
	v_readfirstlane_b32 s18, v1
	s_and_b32 m0, s18, 0xffffff
	global_store_dwordx2 v[10:11], v[1:2], off
	s_sendmsg sendmsg(MSG_INTERRUPT)
.LBB4_579:                              ;   in Loop: Header=BB4_3 Depth=1
	s_or_b64 exec, exec, s[16:17]
	v_add_co_u32_e32 v3, vcc, v15, v43
	v_addc_co_u32_e32 v4, vcc, 0, v16, vcc
	s_branch .LBB4_583
.LBB4_580:                              ;   in Loop: Header=BB4_583 Depth=2
	s_or_b64 exec, exec, s[16:17]
	v_readfirstlane_b32 s16, v1
	s_cmp_eq_u32 s16, 0
	s_cbranch_scc1 .LBB4_582
; %bb.581:                              ;   in Loop: Header=BB4_583 Depth=2
	s_sleep 1
	s_cbranch_execnz .LBB4_583
	s_branch .LBB4_585
.LBB4_582:                              ;   in Loop: Header=BB4_3 Depth=1
	s_branch .LBB4_585
.LBB4_583:                              ;   Parent Loop BB4_3 Depth=1
                                        ; =>  This Inner Loop Header: Depth=2
	v_mov_b32_e32 v1, 1
	s_and_saveexec_b64 s[16:17], s[0:1]
	s_cbranch_execz .LBB4_580
; %bb.584:                              ;   in Loop: Header=BB4_583 Depth=2
	global_load_dword v1, v[7:8], off offset:20 glc
	s_waitcnt vmcnt(0)
	buffer_wbinvl1_vol
	v_and_b32_e32 v1, 1, v1
	s_branch .LBB4_580
.LBB4_585:                              ;   in Loop: Header=BB4_3 Depth=1
	global_load_dwordx2 v[10:11], v[3:4], off
	s_and_saveexec_b64 s[16:17], s[0:1]
	s_cbranch_execz .LBB4_589
; %bb.586:                              ;   in Loop: Header=BB4_3 Depth=1
	global_load_dwordx2 v[3:4], v2, s[2:3] offset:40
	global_load_dwordx2 v[19:20], v2, s[2:3] offset:24 glc
	global_load_dwordx2 v[7:8], v2, s[2:3]
	s_waitcnt vmcnt(2)
	v_readfirstlane_b32 s18, v3
	v_readfirstlane_b32 s19, v4
	s_add_u32 s20, s18, 1
	s_addc_u32 s21, s19, 0
	s_add_u32 s0, s20, s14
	s_addc_u32 s1, s21, s15
	s_cmp_eq_u64 s[0:1], 0
	s_cselect_b32 s1, s21, s1
	s_cselect_b32 s0, s20, s0
	s_and_b64 s[14:15], s[0:1], s[18:19]
	s_mul_i32 s15, s15, 24
	s_mul_hi_u32 s18, s14, 24
	s_mul_i32 s14, s14, 24
	s_add_i32 s15, s18, s15
	v_mov_b32_e32 v1, s15
	s_waitcnt vmcnt(0)
	v_add_co_u32_e32 v3, vcc, s14, v7
	v_addc_co_u32_e32 v4, vcc, v8, v1, vcc
	v_mov_b32_e32 v17, s0
	global_store_dwordx2 v[3:4], v[19:20], off
	v_mov_b32_e32 v18, s1
	s_waitcnt vmcnt(0)
	global_atomic_cmpswap_x2 v[17:18], v2, v[17:20], s[2:3] offset:24 glc
	s_waitcnt vmcnt(0)
	v_cmp_ne_u64_e32 vcc, v[17:18], v[19:20]
	s_and_b64 exec, exec, vcc
	s_cbranch_execz .LBB4_589
; %bb.587:                              ;   in Loop: Header=BB4_3 Depth=1
	s_mov_b64 s[14:15], 0
.LBB4_588:                              ;   Parent Loop BB4_3 Depth=1
                                        ; =>  This Inner Loop Header: Depth=2
	s_sleep 1
	global_store_dwordx2 v[3:4], v[17:18], off
	v_mov_b32_e32 v15, s0
	v_mov_b32_e32 v16, s1
	s_waitcnt vmcnt(0)
	global_atomic_cmpswap_x2 v[7:8], v2, v[15:18], s[2:3] offset:24 glc
	s_waitcnt vmcnt(0)
	v_cmp_eq_u64_e32 vcc, v[7:8], v[17:18]
	v_mov_b32_e32 v18, v8
	s_or_b64 s[14:15], vcc, s[14:15]
	v_mov_b32_e32 v17, v7
	s_andn2_b64 exec, exec, s[14:15]
	s_cbranch_execnz .LBB4_588
.LBB4_589:                              ;   in Loop: Header=BB4_3 Depth=1
	s_or_b64 exec, exec, s[16:17]
	s_and_b64 vcc, exec, s[6:7]
	s_cbranch_vccz .LBB4_761
; %bb.590:                              ;   in Loop: Header=BB4_3 Depth=1
	s_waitcnt vmcnt(0)
	v_and_b32_e32 v15, -3, v10
	v_mov_b32_e32 v16, v11
	s_mov_b64 s[16:17], 6
	s_getpc_b64 s[14:15]
	s_add_u32 s14, s14, .str.7@rel32@lo+4
	s_addc_u32 s15, s15, .str.7@rel32@hi+12
	s_branch .LBB4_592
.LBB4_591:                              ;   in Loop: Header=BB4_592 Depth=2
	s_or_b64 exec, exec, s[22:23]
	s_sub_u32 s16, s16, s18
	s_subb_u32 s17, s17, s19
	s_add_u32 s14, s14, s18
	s_addc_u32 s15, s15, s19
	s_cmp_lg_u64 s[16:17], 0
	s_cbranch_scc0 .LBB4_674
.LBB4_592:                              ;   Parent Loop BB4_3 Depth=1
                                        ; =>  This Loop Header: Depth=2
                                        ;       Child Loop BB4_595 Depth 3
                                        ;       Child Loop BB4_603 Depth 3
	;; [unrolled: 1-line block ×11, first 2 shown]
	v_cmp_lt_u64_e64 s[0:1], s[16:17], 56
	v_cmp_gt_u64_e64 s[20:21], s[16:17], 7
	s_and_b64 s[0:1], s[0:1], exec
	s_cselect_b32 s19, s17, 0
	s_cselect_b32 s18, s16, 56
	s_add_u32 s0, s14, 8
	s_addc_u32 s1, s15, 0
	s_and_b64 vcc, exec, s[20:21]
	s_cbranch_vccnz .LBB4_596
; %bb.593:                              ;   in Loop: Header=BB4_592 Depth=2
	s_cmp_eq_u64 s[16:17], 0
	s_cbranch_scc1 .LBB4_597
; %bb.594:                              ;   in Loop: Header=BB4_592 Depth=2
	v_mov_b32_e32 v17, 0
	s_lshl_b64 s[0:1], s[18:19], 3
	s_mov_b64 s[20:21], 0
	v_mov_b32_e32 v18, 0
	s_mov_b64 s[22:23], s[14:15]
.LBB4_595:                              ;   Parent Loop BB4_3 Depth=1
                                        ;     Parent Loop BB4_592 Depth=2
                                        ; =>    This Inner Loop Header: Depth=3
	global_load_ubyte v1, v2, s[22:23]
	s_waitcnt vmcnt(0)
	v_and_b32_e32 v1, 0xffff, v1
	v_lshlrev_b64 v[3:4], s20, v[1:2]
	s_add_u32 s20, s20, 8
	s_addc_u32 s21, s21, 0
	s_add_u32 s22, s22, 1
	s_addc_u32 s23, s23, 0
	v_or_b32_e32 v17, v3, v17
	s_cmp_lg_u32 s0, s20
	v_or_b32_e32 v18, v4, v18
	s_cbranch_scc1 .LBB4_595
	s_branch .LBB4_598
.LBB4_596:                              ;   in Loop: Header=BB4_592 Depth=2
	s_mov_b32 s24, 0
	s_branch .LBB4_599
.LBB4_597:                              ;   in Loop: Header=BB4_592 Depth=2
	v_mov_b32_e32 v17, 0
	v_mov_b32_e32 v18, 0
.LBB4_598:                              ;   in Loop: Header=BB4_592 Depth=2
	s_mov_b64 s[0:1], s[14:15]
	s_mov_b32 s24, 0
	s_cbranch_execnz .LBB4_600
.LBB4_599:                              ;   in Loop: Header=BB4_592 Depth=2
	global_load_dwordx2 v[17:18], v2, s[14:15]
	s_add_i32 s24, s18, -8
.LBB4_600:                              ;   in Loop: Header=BB4_592 Depth=2
	s_add_u32 s20, s0, 8
	s_addc_u32 s21, s1, 0
	s_cmp_gt_u32 s24, 7
	s_cbranch_scc1 .LBB4_604
; %bb.601:                              ;   in Loop: Header=BB4_592 Depth=2
	s_cmp_eq_u32 s24, 0
	s_cbranch_scc1 .LBB4_605
; %bb.602:                              ;   in Loop: Header=BB4_592 Depth=2
	v_mov_b32_e32 v19, 0
	s_mov_b64 s[20:21], 0
	v_mov_b32_e32 v20, 0
	s_mov_b64 s[22:23], 0
.LBB4_603:                              ;   Parent Loop BB4_3 Depth=1
                                        ;     Parent Loop BB4_592 Depth=2
                                        ; =>    This Inner Loop Header: Depth=3
	s_add_u32 s26, s0, s22
	s_addc_u32 s27, s1, s23
	global_load_ubyte v1, v2, s[26:27]
	s_add_u32 s22, s22, 1
	s_addc_u32 s23, s23, 0
	s_waitcnt vmcnt(0)
	v_and_b32_e32 v1, 0xffff, v1
	v_lshlrev_b64 v[3:4], s20, v[1:2]
	s_add_u32 s20, s20, 8
	s_addc_u32 s21, s21, 0
	v_or_b32_e32 v19, v3, v19
	s_cmp_lg_u32 s24, s22
	v_or_b32_e32 v20, v4, v20
	s_cbranch_scc1 .LBB4_603
	s_branch .LBB4_606
.LBB4_604:                              ;   in Loop: Header=BB4_592 Depth=2
                                        ; implicit-def: $vgpr19_vgpr20
	s_mov_b32 s25, 0
	s_branch .LBB4_607
.LBB4_605:                              ;   in Loop: Header=BB4_592 Depth=2
	v_mov_b32_e32 v19, 0
	v_mov_b32_e32 v20, 0
.LBB4_606:                              ;   in Loop: Header=BB4_592 Depth=2
	s_mov_b64 s[20:21], s[0:1]
	s_mov_b32 s25, 0
	s_cbranch_execnz .LBB4_608
.LBB4_607:                              ;   in Loop: Header=BB4_592 Depth=2
	global_load_dwordx2 v[19:20], v2, s[0:1]
	s_add_i32 s25, s24, -8
.LBB4_608:                              ;   in Loop: Header=BB4_592 Depth=2
	s_add_u32 s0, s20, 8
	s_addc_u32 s1, s21, 0
	s_cmp_gt_u32 s25, 7
	s_cbranch_scc1 .LBB4_612
; %bb.609:                              ;   in Loop: Header=BB4_592 Depth=2
	s_cmp_eq_u32 s25, 0
	s_cbranch_scc1 .LBB4_613
; %bb.610:                              ;   in Loop: Header=BB4_592 Depth=2
	v_mov_b32_e32 v21, 0
	s_mov_b64 s[0:1], 0
	v_mov_b32_e32 v22, 0
	s_mov_b64 s[22:23], 0
.LBB4_611:                              ;   Parent Loop BB4_3 Depth=1
                                        ;     Parent Loop BB4_592 Depth=2
                                        ; =>    This Inner Loop Header: Depth=3
	s_add_u32 s26, s20, s22
	s_addc_u32 s27, s21, s23
	global_load_ubyte v1, v2, s[26:27]
	s_add_u32 s22, s22, 1
	s_addc_u32 s23, s23, 0
	s_waitcnt vmcnt(0)
	v_and_b32_e32 v1, 0xffff, v1
	v_lshlrev_b64 v[3:4], s0, v[1:2]
	s_add_u32 s0, s0, 8
	s_addc_u32 s1, s1, 0
	v_or_b32_e32 v21, v3, v21
	s_cmp_lg_u32 s25, s22
	v_or_b32_e32 v22, v4, v22
	s_cbranch_scc1 .LBB4_611
	s_branch .LBB4_614
.LBB4_612:                              ;   in Loop: Header=BB4_592 Depth=2
	s_mov_b32 s24, 0
	s_branch .LBB4_615
.LBB4_613:                              ;   in Loop: Header=BB4_592 Depth=2
	v_mov_b32_e32 v21, 0
	v_mov_b32_e32 v22, 0
.LBB4_614:                              ;   in Loop: Header=BB4_592 Depth=2
	s_mov_b64 s[0:1], s[20:21]
	s_mov_b32 s24, 0
	s_cbranch_execnz .LBB4_616
.LBB4_615:                              ;   in Loop: Header=BB4_592 Depth=2
	global_load_dwordx2 v[21:22], v2, s[20:21]
	s_add_i32 s24, s25, -8
.LBB4_616:                              ;   in Loop: Header=BB4_592 Depth=2
	s_add_u32 s20, s0, 8
	s_addc_u32 s21, s1, 0
	s_cmp_gt_u32 s24, 7
	s_cbranch_scc1 .LBB4_620
; %bb.617:                              ;   in Loop: Header=BB4_592 Depth=2
	s_cmp_eq_u32 s24, 0
	s_cbranch_scc1 .LBB4_621
; %bb.618:                              ;   in Loop: Header=BB4_592 Depth=2
	v_mov_b32_e32 v23, 0
	s_mov_b64 s[20:21], 0
	v_mov_b32_e32 v24, 0
	s_mov_b64 s[22:23], 0
.LBB4_619:                              ;   Parent Loop BB4_3 Depth=1
                                        ;     Parent Loop BB4_592 Depth=2
                                        ; =>    This Inner Loop Header: Depth=3
	s_add_u32 s26, s0, s22
	s_addc_u32 s27, s1, s23
	global_load_ubyte v1, v2, s[26:27]
	s_add_u32 s22, s22, 1
	s_addc_u32 s23, s23, 0
	s_waitcnt vmcnt(0)
	v_and_b32_e32 v1, 0xffff, v1
	v_lshlrev_b64 v[3:4], s20, v[1:2]
	s_add_u32 s20, s20, 8
	s_addc_u32 s21, s21, 0
	v_or_b32_e32 v23, v3, v23
	s_cmp_lg_u32 s24, s22
	v_or_b32_e32 v24, v4, v24
	s_cbranch_scc1 .LBB4_619
	s_branch .LBB4_622
.LBB4_620:                              ;   in Loop: Header=BB4_592 Depth=2
                                        ; implicit-def: $vgpr23_vgpr24
	s_mov_b32 s25, 0
	s_branch .LBB4_623
.LBB4_621:                              ;   in Loop: Header=BB4_592 Depth=2
	v_mov_b32_e32 v23, 0
	v_mov_b32_e32 v24, 0
.LBB4_622:                              ;   in Loop: Header=BB4_592 Depth=2
	s_mov_b64 s[20:21], s[0:1]
	s_mov_b32 s25, 0
	s_cbranch_execnz .LBB4_624
.LBB4_623:                              ;   in Loop: Header=BB4_592 Depth=2
	global_load_dwordx2 v[23:24], v2, s[0:1]
	s_add_i32 s25, s24, -8
.LBB4_624:                              ;   in Loop: Header=BB4_592 Depth=2
	s_add_u32 s0, s20, 8
	s_addc_u32 s1, s21, 0
	s_cmp_gt_u32 s25, 7
	s_cbranch_scc1 .LBB4_628
; %bb.625:                              ;   in Loop: Header=BB4_592 Depth=2
	s_cmp_eq_u32 s25, 0
	s_cbranch_scc1 .LBB4_629
; %bb.626:                              ;   in Loop: Header=BB4_592 Depth=2
	v_mov_b32_e32 v25, 0
	s_mov_b64 s[0:1], 0
	v_mov_b32_e32 v26, 0
	s_mov_b64 s[22:23], 0
.LBB4_627:                              ;   Parent Loop BB4_3 Depth=1
                                        ;     Parent Loop BB4_592 Depth=2
                                        ; =>    This Inner Loop Header: Depth=3
	s_add_u32 s26, s20, s22
	s_addc_u32 s27, s21, s23
	global_load_ubyte v1, v2, s[26:27]
	s_add_u32 s22, s22, 1
	s_addc_u32 s23, s23, 0
	s_waitcnt vmcnt(0)
	v_and_b32_e32 v1, 0xffff, v1
	v_lshlrev_b64 v[3:4], s0, v[1:2]
	s_add_u32 s0, s0, 8
	s_addc_u32 s1, s1, 0
	v_or_b32_e32 v25, v3, v25
	s_cmp_lg_u32 s25, s22
	v_or_b32_e32 v26, v4, v26
	s_cbranch_scc1 .LBB4_627
	s_branch .LBB4_630
.LBB4_628:                              ;   in Loop: Header=BB4_592 Depth=2
	s_mov_b32 s24, 0
	s_branch .LBB4_631
.LBB4_629:                              ;   in Loop: Header=BB4_592 Depth=2
	v_mov_b32_e32 v25, 0
	v_mov_b32_e32 v26, 0
.LBB4_630:                              ;   in Loop: Header=BB4_592 Depth=2
	s_mov_b64 s[0:1], s[20:21]
	s_mov_b32 s24, 0
	s_cbranch_execnz .LBB4_632
.LBB4_631:                              ;   in Loop: Header=BB4_592 Depth=2
	global_load_dwordx2 v[25:26], v2, s[20:21]
	s_add_i32 s24, s25, -8
.LBB4_632:                              ;   in Loop: Header=BB4_592 Depth=2
	s_add_u32 s20, s0, 8
	s_addc_u32 s21, s1, 0
	s_cmp_gt_u32 s24, 7
	s_cbranch_scc1 .LBB4_636
; %bb.633:                              ;   in Loop: Header=BB4_592 Depth=2
	s_cmp_eq_u32 s24, 0
	s_cbranch_scc1 .LBB4_637
; %bb.634:                              ;   in Loop: Header=BB4_592 Depth=2
	v_mov_b32_e32 v27, 0
	s_mov_b64 s[20:21], 0
	v_mov_b32_e32 v28, 0
	s_mov_b64 s[22:23], 0
.LBB4_635:                              ;   Parent Loop BB4_3 Depth=1
                                        ;     Parent Loop BB4_592 Depth=2
                                        ; =>    This Inner Loop Header: Depth=3
	s_add_u32 s26, s0, s22
	s_addc_u32 s27, s1, s23
	global_load_ubyte v1, v2, s[26:27]
	s_add_u32 s22, s22, 1
	s_addc_u32 s23, s23, 0
	s_waitcnt vmcnt(0)
	v_and_b32_e32 v1, 0xffff, v1
	v_lshlrev_b64 v[3:4], s20, v[1:2]
	s_add_u32 s20, s20, 8
	s_addc_u32 s21, s21, 0
	v_or_b32_e32 v27, v3, v27
	s_cmp_lg_u32 s24, s22
	v_or_b32_e32 v28, v4, v28
	s_cbranch_scc1 .LBB4_635
	s_branch .LBB4_638
.LBB4_636:                              ;   in Loop: Header=BB4_592 Depth=2
                                        ; implicit-def: $vgpr27_vgpr28
	s_mov_b32 s25, 0
	s_branch .LBB4_639
.LBB4_637:                              ;   in Loop: Header=BB4_592 Depth=2
	v_mov_b32_e32 v27, 0
	v_mov_b32_e32 v28, 0
.LBB4_638:                              ;   in Loop: Header=BB4_592 Depth=2
	s_mov_b64 s[20:21], s[0:1]
	s_mov_b32 s25, 0
	s_cbranch_execnz .LBB4_640
.LBB4_639:                              ;   in Loop: Header=BB4_592 Depth=2
	global_load_dwordx2 v[27:28], v2, s[0:1]
	s_add_i32 s25, s24, -8
.LBB4_640:                              ;   in Loop: Header=BB4_592 Depth=2
	s_cmp_gt_u32 s25, 7
	s_cbranch_scc1 .LBB4_644
; %bb.641:                              ;   in Loop: Header=BB4_592 Depth=2
	s_cmp_eq_u32 s25, 0
	s_cbranch_scc1 .LBB4_645
; %bb.642:                              ;   in Loop: Header=BB4_592 Depth=2
	v_mov_b32_e32 v29, 0
	s_mov_b64 s[0:1], 0
	v_mov_b32_e32 v30, 0
	s_mov_b64 s[22:23], s[20:21]
.LBB4_643:                              ;   Parent Loop BB4_3 Depth=1
                                        ;     Parent Loop BB4_592 Depth=2
                                        ; =>    This Inner Loop Header: Depth=3
	global_load_ubyte v1, v2, s[22:23]
	s_add_i32 s25, s25, -1
	s_waitcnt vmcnt(0)
	v_and_b32_e32 v1, 0xffff, v1
	v_lshlrev_b64 v[3:4], s0, v[1:2]
	s_add_u32 s0, s0, 8
	s_addc_u32 s1, s1, 0
	s_add_u32 s22, s22, 1
	s_addc_u32 s23, s23, 0
	v_or_b32_e32 v29, v3, v29
	s_cmp_lg_u32 s25, 0
	v_or_b32_e32 v30, v4, v30
	s_cbranch_scc1 .LBB4_643
	s_branch .LBB4_646
.LBB4_644:                              ;   in Loop: Header=BB4_592 Depth=2
	s_branch .LBB4_647
.LBB4_645:                              ;   in Loop: Header=BB4_592 Depth=2
	v_mov_b32_e32 v29, 0
	v_mov_b32_e32 v30, 0
.LBB4_646:                              ;   in Loop: Header=BB4_592 Depth=2
	s_cbranch_execnz .LBB4_648
.LBB4_647:                              ;   in Loop: Header=BB4_592 Depth=2
	global_load_dwordx2 v[29:30], v2, s[20:21]
.LBB4_648:                              ;   in Loop: Header=BB4_592 Depth=2
	v_readfirstlane_b32 s0, v40
	v_mov_b32_e32 v3, 0
	v_mov_b32_e32 v4, 0
	v_cmp_eq_u32_e64 s[0:1], s0, v40
	s_and_saveexec_b64 s[20:21], s[0:1]
	s_cbranch_execz .LBB4_654
; %bb.649:                              ;   in Loop: Header=BB4_592 Depth=2
	global_load_dwordx2 v[33:34], v2, s[2:3] offset:24 glc
	s_waitcnt vmcnt(0)
	buffer_wbinvl1_vol
	global_load_dwordx2 v[3:4], v2, s[2:3] offset:40
	global_load_dwordx2 v[7:8], v2, s[2:3]
	s_waitcnt vmcnt(1)
	v_and_b32_e32 v1, v3, v33
	v_and_b32_e32 v3, v4, v34
	v_mul_lo_u32 v3, v3, 24
	v_mul_hi_u32 v4, v1, 24
	v_mul_lo_u32 v1, v1, 24
	v_add_u32_e32 v4, v4, v3
	s_waitcnt vmcnt(0)
	v_add_co_u32_e32 v3, vcc, v7, v1
	v_addc_co_u32_e32 v4, vcc, v8, v4, vcc
	global_load_dwordx2 v[31:32], v[3:4], off glc
	s_waitcnt vmcnt(0)
	global_atomic_cmpswap_x2 v[3:4], v2, v[31:34], s[2:3] offset:24 glc
	s_waitcnt vmcnt(0)
	buffer_wbinvl1_vol
	v_cmp_ne_u64_e32 vcc, v[3:4], v[33:34]
	s_and_saveexec_b64 s[22:23], vcc
	s_cbranch_execz .LBB4_653
; %bb.650:                              ;   in Loop: Header=BB4_592 Depth=2
	s_mov_b64 s[24:25], 0
.LBB4_651:                              ;   Parent Loop BB4_3 Depth=1
                                        ;     Parent Loop BB4_592 Depth=2
                                        ; =>    This Inner Loop Header: Depth=3
	s_sleep 1
	global_load_dwordx2 v[7:8], v2, s[2:3] offset:40
	global_load_dwordx2 v[12:13], v2, s[2:3]
	v_mov_b32_e32 v34, v4
	v_mov_b32_e32 v33, v3
	s_waitcnt vmcnt(1)
	v_and_b32_e32 v1, v7, v33
	s_waitcnt vmcnt(0)
	v_mad_u64_u32 v[3:4], s[26:27], v1, 24, v[12:13]
	v_and_b32_e32 v7, v8, v34
	v_mov_b32_e32 v1, v4
	v_mad_u64_u32 v[7:8], s[26:27], v7, 24, v[1:2]
	v_mov_b32_e32 v4, v7
	global_load_dwordx2 v[31:32], v[3:4], off glc
	s_waitcnt vmcnt(0)
	global_atomic_cmpswap_x2 v[3:4], v2, v[31:34], s[2:3] offset:24 glc
	s_waitcnt vmcnt(0)
	buffer_wbinvl1_vol
	v_cmp_eq_u64_e32 vcc, v[3:4], v[33:34]
	s_or_b64 s[24:25], vcc, s[24:25]
	s_andn2_b64 exec, exec, s[24:25]
	s_cbranch_execnz .LBB4_651
; %bb.652:                              ;   in Loop: Header=BB4_592 Depth=2
	s_or_b64 exec, exec, s[24:25]
.LBB4_653:                              ;   in Loop: Header=BB4_592 Depth=2
	s_or_b64 exec, exec, s[22:23]
.LBB4_654:                              ;   in Loop: Header=BB4_592 Depth=2
	s_or_b64 exec, exec, s[20:21]
	global_load_dwordx2 v[7:8], v2, s[2:3] offset:40
	global_load_dwordx4 v[31:34], v2, s[2:3]
	v_readfirstlane_b32 s21, v4
	v_readfirstlane_b32 s20, v3
	s_mov_b64 s[22:23], exec
	s_waitcnt vmcnt(1)
	v_readfirstlane_b32 s24, v7
	v_readfirstlane_b32 s25, v8
	s_and_b64 s[24:25], s[24:25], s[20:21]
	s_mul_i32 s26, s25, 24
	s_mul_hi_u32 s27, s24, 24
	s_mul_i32 s33, s24, 24
	s_add_i32 s26, s27, s26
	v_mov_b32_e32 v1, s26
	s_waitcnt vmcnt(0)
	v_add_co_u32_e32 v7, vcc, s33, v31
	v_addc_co_u32_e32 v8, vcc, v32, v1, vcc
	s_and_saveexec_b64 s[26:27], s[0:1]
	s_cbranch_execz .LBB4_656
; %bb.655:                              ;   in Loop: Header=BB4_592 Depth=2
	v_mov_b32_e32 v3, s22
	v_mov_b32_e32 v4, s23
	global_store_dwordx4 v[7:8], v[3:6], off offset:8
.LBB4_656:                              ;   in Loop: Header=BB4_592 Depth=2
	s_or_b64 exec, exec, s[26:27]
	s_lshl_b64 s[22:23], s[24:25], 12
	v_mov_b32_e32 v1, s23
	v_add_co_u32_e32 v33, vcc, s22, v33
	v_addc_co_u32_e32 v34, vcc, v34, v1, vcc
	v_cmp_lt_u64_e64 vcc, s[16:17], 57
	v_and_b32_e32 v1, 2, v10
	s_lshl_b32 s22, s18, 2
	v_cndmask_b32_e32 v1, 0, v1, vcc
	s_add_i32 s22, s22, 28
	v_and_b32_e32 v3, 0xffffff1f, v15
	s_and_b32 s22, s22, 0x1e0
	v_or_b32_e32 v1, v3, v1
	v_or_b32_e32 v15, s22, v1
	v_readfirstlane_b32 s22, v33
	v_readfirstlane_b32 s23, v34
	s_nop 4
	global_store_dwordx4 v43, v[15:18], s[22:23]
	global_store_dwordx4 v43, v[19:22], s[22:23] offset:16
	global_store_dwordx4 v43, v[23:26], s[22:23] offset:32
	;; [unrolled: 1-line block ×3, first 2 shown]
	s_and_saveexec_b64 s[22:23], s[0:1]
	s_cbranch_execz .LBB4_664
; %bb.657:                              ;   in Loop: Header=BB4_592 Depth=2
	global_load_dwordx2 v[19:20], v2, s[2:3] offset:32 glc
	global_load_dwordx2 v[3:4], v2, s[2:3] offset:40
	v_mov_b32_e32 v17, s20
	v_mov_b32_e32 v18, s21
	s_waitcnt vmcnt(0)
	v_readfirstlane_b32 s24, v3
	v_readfirstlane_b32 s25, v4
	s_and_b64 s[24:25], s[24:25], s[20:21]
	s_mul_i32 s25, s25, 24
	s_mul_hi_u32 s26, s24, 24
	s_mul_i32 s24, s24, 24
	s_add_i32 s25, s26, s25
	v_mov_b32_e32 v1, s25
	v_add_co_u32_e32 v3, vcc, s24, v31
	v_addc_co_u32_e32 v4, vcc, v32, v1, vcc
	global_store_dwordx2 v[3:4], v[19:20], off
	s_waitcnt vmcnt(0)
	global_atomic_cmpswap_x2 v[17:18], v2, v[17:20], s[2:3] offset:32 glc
	s_waitcnt vmcnt(0)
	v_cmp_ne_u64_e32 vcc, v[17:18], v[19:20]
	s_and_saveexec_b64 s[24:25], vcc
	s_cbranch_execz .LBB4_660
; %bb.658:                              ;   in Loop: Header=BB4_592 Depth=2
	s_mov_b64 s[26:27], 0
.LBB4_659:                              ;   Parent Loop BB4_3 Depth=1
                                        ;     Parent Loop BB4_592 Depth=2
                                        ; =>    This Inner Loop Header: Depth=3
	s_sleep 1
	global_store_dwordx2 v[3:4], v[17:18], off
	v_mov_b32_e32 v15, s20
	v_mov_b32_e32 v16, s21
	s_waitcnt vmcnt(0)
	global_atomic_cmpswap_x2 v[12:13], v2, v[15:18], s[2:3] offset:32 glc
	s_waitcnt vmcnt(0)
	v_cmp_eq_u64_e32 vcc, v[12:13], v[17:18]
	v_mov_b32_e32 v18, v13
	s_or_b64 s[26:27], vcc, s[26:27]
	v_mov_b32_e32 v17, v12
	s_andn2_b64 exec, exec, s[26:27]
	s_cbranch_execnz .LBB4_659
.LBB4_660:                              ;   in Loop: Header=BB4_592 Depth=2
	s_or_b64 exec, exec, s[24:25]
	global_load_dwordx2 v[3:4], v2, s[2:3] offset:16
	s_mov_b64 s[26:27], exec
	v_mbcnt_lo_u32_b32 v1, s26, 0
	v_mbcnt_hi_u32_b32 v1, s27, v1
	v_cmp_eq_u32_e32 vcc, 0, v1
	s_and_saveexec_b64 s[24:25], vcc
	s_cbranch_execz .LBB4_662
; %bb.661:                              ;   in Loop: Header=BB4_592 Depth=2
	s_bcnt1_i32_b64 s26, s[26:27]
	v_mov_b32_e32 v1, s26
	s_waitcnt vmcnt(0)
	global_atomic_add_x2 v[3:4], v[1:2], off offset:8
.LBB4_662:                              ;   in Loop: Header=BB4_592 Depth=2
	s_or_b64 exec, exec, s[24:25]
	s_waitcnt vmcnt(0)
	global_load_dwordx2 v[12:13], v[3:4], off offset:16
	s_waitcnt vmcnt(0)
	v_cmp_eq_u64_e32 vcc, 0, v[12:13]
	s_cbranch_vccnz .LBB4_664
; %bb.663:                              ;   in Loop: Header=BB4_592 Depth=2
	global_load_dword v1, v[3:4], off offset:24
	s_waitcnt vmcnt(0)
	v_readfirstlane_b32 s24, v1
	s_and_b32 m0, s24, 0xffffff
	global_store_dwordx2 v[12:13], v[1:2], off
	s_sendmsg sendmsg(MSG_INTERRUPT)
.LBB4_664:                              ;   in Loop: Header=BB4_592 Depth=2
	s_or_b64 exec, exec, s[22:23]
	v_add_co_u32_e32 v3, vcc, v33, v43
	v_addc_co_u32_e32 v4, vcc, 0, v34, vcc
	s_branch .LBB4_668
.LBB4_665:                              ;   in Loop: Header=BB4_668 Depth=3
	s_or_b64 exec, exec, s[22:23]
	v_readfirstlane_b32 s22, v1
	s_cmp_eq_u32 s22, 0
	s_cbranch_scc1 .LBB4_667
; %bb.666:                              ;   in Loop: Header=BB4_668 Depth=3
	s_sleep 1
	s_cbranch_execnz .LBB4_668
	s_branch .LBB4_670
.LBB4_667:                              ;   in Loop: Header=BB4_592 Depth=2
	s_branch .LBB4_670
.LBB4_668:                              ;   Parent Loop BB4_3 Depth=1
                                        ;     Parent Loop BB4_592 Depth=2
                                        ; =>    This Inner Loop Header: Depth=3
	v_mov_b32_e32 v1, 1
	s_and_saveexec_b64 s[22:23], s[0:1]
	s_cbranch_execz .LBB4_665
; %bb.669:                              ;   in Loop: Header=BB4_668 Depth=3
	global_load_dword v1, v[7:8], off offset:20 glc
	s_waitcnt vmcnt(0)
	buffer_wbinvl1_vol
	v_and_b32_e32 v1, 1, v1
	s_branch .LBB4_665
.LBB4_670:                              ;   in Loop: Header=BB4_592 Depth=2
	global_load_dwordx2 v[15:16], v[3:4], off
	s_and_saveexec_b64 s[22:23], s[0:1]
	s_cbranch_execz .LBB4_591
; %bb.671:                              ;   in Loop: Header=BB4_592 Depth=2
	global_load_dwordx2 v[3:4], v2, s[2:3] offset:40
	global_load_dwordx2 v[21:22], v2, s[2:3] offset:24 glc
	global_load_dwordx2 v[7:8], v2, s[2:3]
	s_waitcnt vmcnt(2)
	v_readfirstlane_b32 s24, v3
	v_readfirstlane_b32 s25, v4
	s_add_u32 s26, s24, 1
	s_addc_u32 s27, s25, 0
	s_add_u32 s0, s26, s20
	s_addc_u32 s1, s27, s21
	s_cmp_eq_u64 s[0:1], 0
	s_cselect_b32 s1, s27, s1
	s_cselect_b32 s0, s26, s0
	s_and_b64 s[20:21], s[0:1], s[24:25]
	s_mul_i32 s21, s21, 24
	s_mul_hi_u32 s24, s20, 24
	s_mul_i32 s20, s20, 24
	s_add_i32 s21, s24, s21
	v_mov_b32_e32 v1, s21
	s_waitcnt vmcnt(0)
	v_add_co_u32_e32 v3, vcc, s20, v7
	v_addc_co_u32_e32 v4, vcc, v8, v1, vcc
	v_mov_b32_e32 v19, s0
	global_store_dwordx2 v[3:4], v[21:22], off
	v_mov_b32_e32 v20, s1
	s_waitcnt vmcnt(0)
	global_atomic_cmpswap_x2 v[19:20], v2, v[19:22], s[2:3] offset:24 glc
	s_waitcnt vmcnt(0)
	v_cmp_ne_u64_e32 vcc, v[19:20], v[21:22]
	s_and_b64 exec, exec, vcc
	s_cbranch_execz .LBB4_591
; %bb.672:                              ;   in Loop: Header=BB4_592 Depth=2
	s_mov_b64 s[20:21], 0
.LBB4_673:                              ;   Parent Loop BB4_3 Depth=1
                                        ;     Parent Loop BB4_592 Depth=2
                                        ; =>    This Inner Loop Header: Depth=3
	s_sleep 1
	global_store_dwordx2 v[3:4], v[19:20], off
	v_mov_b32_e32 v17, s0
	v_mov_b32_e32 v18, s1
	s_waitcnt vmcnt(0)
	global_atomic_cmpswap_x2 v[7:8], v2, v[17:20], s[2:3] offset:24 glc
	s_waitcnt vmcnt(0)
	v_cmp_eq_u64_e32 vcc, v[7:8], v[19:20]
	v_mov_b32_e32 v20, v8
	s_or_b64 s[20:21], vcc, s[20:21]
	v_mov_b32_e32 v19, v7
	s_andn2_b64 exec, exec, s[20:21]
	s_cbranch_execnz .LBB4_673
	s_branch .LBB4_591
.LBB4_674:                              ;   in Loop: Header=BB4_3 Depth=1
.LBB4_675:                              ;   in Loop: Header=BB4_3 Depth=1
	s_and_b64 vcc, exec, s[12:13]
	s_cbranch_vccz .LBB4_789
.LBB4_676:                              ;   in Loop: Header=BB4_3 Depth=1
	s_waitcnt vmcnt(0)
	v_and_b32_e32 v10, -3, v15
	v_mov_b32_e32 v11, v16
	s_mov_b64 s[16:17], 45
	s_getpc_b64 s[14:15]
	s_add_u32 s14, s14, .str.6@rel32@lo+4
	s_addc_u32 s15, s15, .str.6@rel32@hi+12
	s_branch .LBB4_678
.LBB4_677:                              ;   in Loop: Header=BB4_678 Depth=2
	s_or_b64 exec, exec, s[22:23]
	s_sub_u32 s16, s16, s18
	s_subb_u32 s17, s17, s19
	s_add_u32 s14, s14, s18
	s_addc_u32 s15, s15, s19
	s_cmp_lg_u64 s[16:17], 0
	s_cbranch_scc0 .LBB4_760
.LBB4_678:                              ;   Parent Loop BB4_3 Depth=1
                                        ; =>  This Loop Header: Depth=2
                                        ;       Child Loop BB4_681 Depth 3
                                        ;       Child Loop BB4_689 Depth 3
	;; [unrolled: 1-line block ×11, first 2 shown]
	v_cmp_lt_u64_e64 s[0:1], s[16:17], 56
	v_cmp_gt_u64_e64 s[20:21], s[16:17], 7
	s_and_b64 s[0:1], s[0:1], exec
	s_cselect_b32 s19, s17, 0
	s_cselect_b32 s18, s16, 56
	s_add_u32 s0, s14, 8
	s_addc_u32 s1, s15, 0
	s_and_b64 vcc, exec, s[20:21]
	s_cbranch_vccnz .LBB4_682
; %bb.679:                              ;   in Loop: Header=BB4_678 Depth=2
	s_cmp_eq_u64 s[16:17], 0
	s_cbranch_scc1 .LBB4_683
; %bb.680:                              ;   in Loop: Header=BB4_678 Depth=2
	v_mov_b32_e32 v12, 0
	s_lshl_b64 s[0:1], s[18:19], 3
	s_mov_b64 s[20:21], 0
	v_mov_b32_e32 v13, 0
	s_mov_b64 s[22:23], s[14:15]
.LBB4_681:                              ;   Parent Loop BB4_3 Depth=1
                                        ;     Parent Loop BB4_678 Depth=2
                                        ; =>    This Inner Loop Header: Depth=3
	global_load_ubyte v1, v2, s[22:23]
	s_waitcnt vmcnt(0)
	v_and_b32_e32 v1, 0xffff, v1
	v_lshlrev_b64 v[3:4], s20, v[1:2]
	s_add_u32 s20, s20, 8
	s_addc_u32 s21, s21, 0
	s_add_u32 s22, s22, 1
	s_addc_u32 s23, s23, 0
	v_or_b32_e32 v12, v3, v12
	s_cmp_lg_u32 s0, s20
	v_or_b32_e32 v13, v4, v13
	s_cbranch_scc1 .LBB4_681
	s_branch .LBB4_684
.LBB4_682:                              ;   in Loop: Header=BB4_678 Depth=2
	s_mov_b32 s24, 0
	s_branch .LBB4_685
.LBB4_683:                              ;   in Loop: Header=BB4_678 Depth=2
	v_mov_b32_e32 v12, 0
	v_mov_b32_e32 v13, 0
.LBB4_684:                              ;   in Loop: Header=BB4_678 Depth=2
	s_mov_b64 s[0:1], s[14:15]
	s_mov_b32 s24, 0
	s_cbranch_execnz .LBB4_686
.LBB4_685:                              ;   in Loop: Header=BB4_678 Depth=2
	global_load_dwordx2 v[12:13], v2, s[14:15]
	s_add_i32 s24, s18, -8
.LBB4_686:                              ;   in Loop: Header=BB4_678 Depth=2
	s_add_u32 s20, s0, 8
	s_addc_u32 s21, s1, 0
	s_cmp_gt_u32 s24, 7
	s_cbranch_scc1 .LBB4_690
; %bb.687:                              ;   in Loop: Header=BB4_678 Depth=2
	s_cmp_eq_u32 s24, 0
	s_cbranch_scc1 .LBB4_691
; %bb.688:                              ;   in Loop: Header=BB4_678 Depth=2
	v_mov_b32_e32 v17, 0
	s_mov_b64 s[20:21], 0
	v_mov_b32_e32 v18, 0
	s_mov_b64 s[22:23], 0
.LBB4_689:                              ;   Parent Loop BB4_3 Depth=1
                                        ;     Parent Loop BB4_678 Depth=2
                                        ; =>    This Inner Loop Header: Depth=3
	s_add_u32 s26, s0, s22
	s_addc_u32 s27, s1, s23
	global_load_ubyte v1, v2, s[26:27]
	s_add_u32 s22, s22, 1
	s_addc_u32 s23, s23, 0
	s_waitcnt vmcnt(0)
	v_and_b32_e32 v1, 0xffff, v1
	v_lshlrev_b64 v[3:4], s20, v[1:2]
	s_add_u32 s20, s20, 8
	s_addc_u32 s21, s21, 0
	v_or_b32_e32 v17, v3, v17
	s_cmp_lg_u32 s24, s22
	v_or_b32_e32 v18, v4, v18
	s_cbranch_scc1 .LBB4_689
	s_branch .LBB4_692
.LBB4_690:                              ;   in Loop: Header=BB4_678 Depth=2
                                        ; implicit-def: $vgpr17_vgpr18
	s_mov_b32 s25, 0
	s_branch .LBB4_693
.LBB4_691:                              ;   in Loop: Header=BB4_678 Depth=2
	v_mov_b32_e32 v17, 0
	v_mov_b32_e32 v18, 0
.LBB4_692:                              ;   in Loop: Header=BB4_678 Depth=2
	s_mov_b64 s[20:21], s[0:1]
	s_mov_b32 s25, 0
	s_cbranch_execnz .LBB4_694
.LBB4_693:                              ;   in Loop: Header=BB4_678 Depth=2
	global_load_dwordx2 v[17:18], v2, s[0:1]
	s_add_i32 s25, s24, -8
.LBB4_694:                              ;   in Loop: Header=BB4_678 Depth=2
	s_add_u32 s0, s20, 8
	s_addc_u32 s1, s21, 0
	s_cmp_gt_u32 s25, 7
	s_cbranch_scc1 .LBB4_698
; %bb.695:                              ;   in Loop: Header=BB4_678 Depth=2
	s_cmp_eq_u32 s25, 0
	s_cbranch_scc1 .LBB4_699
; %bb.696:                              ;   in Loop: Header=BB4_678 Depth=2
	v_mov_b32_e32 v19, 0
	s_mov_b64 s[0:1], 0
	v_mov_b32_e32 v20, 0
	s_mov_b64 s[22:23], 0
.LBB4_697:                              ;   Parent Loop BB4_3 Depth=1
                                        ;     Parent Loop BB4_678 Depth=2
                                        ; =>    This Inner Loop Header: Depth=3
	s_add_u32 s26, s20, s22
	s_addc_u32 s27, s21, s23
	global_load_ubyte v1, v2, s[26:27]
	s_add_u32 s22, s22, 1
	s_addc_u32 s23, s23, 0
	s_waitcnt vmcnt(0)
	v_and_b32_e32 v1, 0xffff, v1
	v_lshlrev_b64 v[3:4], s0, v[1:2]
	s_add_u32 s0, s0, 8
	s_addc_u32 s1, s1, 0
	v_or_b32_e32 v19, v3, v19
	s_cmp_lg_u32 s25, s22
	v_or_b32_e32 v20, v4, v20
	s_cbranch_scc1 .LBB4_697
	s_branch .LBB4_700
.LBB4_698:                              ;   in Loop: Header=BB4_678 Depth=2
	s_mov_b32 s24, 0
	s_branch .LBB4_701
.LBB4_699:                              ;   in Loop: Header=BB4_678 Depth=2
	v_mov_b32_e32 v19, 0
	v_mov_b32_e32 v20, 0
.LBB4_700:                              ;   in Loop: Header=BB4_678 Depth=2
	s_mov_b64 s[0:1], s[20:21]
	s_mov_b32 s24, 0
	s_cbranch_execnz .LBB4_702
.LBB4_701:                              ;   in Loop: Header=BB4_678 Depth=2
	global_load_dwordx2 v[19:20], v2, s[20:21]
	s_add_i32 s24, s25, -8
.LBB4_702:                              ;   in Loop: Header=BB4_678 Depth=2
	s_add_u32 s20, s0, 8
	s_addc_u32 s21, s1, 0
	s_cmp_gt_u32 s24, 7
	s_cbranch_scc1 .LBB4_706
; %bb.703:                              ;   in Loop: Header=BB4_678 Depth=2
	s_cmp_eq_u32 s24, 0
	s_cbranch_scc1 .LBB4_707
; %bb.704:                              ;   in Loop: Header=BB4_678 Depth=2
	v_mov_b32_e32 v21, 0
	s_mov_b64 s[20:21], 0
	v_mov_b32_e32 v22, 0
	s_mov_b64 s[22:23], 0
.LBB4_705:                              ;   Parent Loop BB4_3 Depth=1
                                        ;     Parent Loop BB4_678 Depth=2
                                        ; =>    This Inner Loop Header: Depth=3
	s_add_u32 s26, s0, s22
	s_addc_u32 s27, s1, s23
	global_load_ubyte v1, v2, s[26:27]
	s_add_u32 s22, s22, 1
	s_addc_u32 s23, s23, 0
	s_waitcnt vmcnt(0)
	v_and_b32_e32 v1, 0xffff, v1
	v_lshlrev_b64 v[3:4], s20, v[1:2]
	s_add_u32 s20, s20, 8
	s_addc_u32 s21, s21, 0
	v_or_b32_e32 v21, v3, v21
	s_cmp_lg_u32 s24, s22
	v_or_b32_e32 v22, v4, v22
	s_cbranch_scc1 .LBB4_705
	s_branch .LBB4_708
.LBB4_706:                              ;   in Loop: Header=BB4_678 Depth=2
                                        ; implicit-def: $vgpr21_vgpr22
	s_mov_b32 s25, 0
	s_branch .LBB4_709
.LBB4_707:                              ;   in Loop: Header=BB4_678 Depth=2
	v_mov_b32_e32 v21, 0
	v_mov_b32_e32 v22, 0
.LBB4_708:                              ;   in Loop: Header=BB4_678 Depth=2
	s_mov_b64 s[20:21], s[0:1]
	s_mov_b32 s25, 0
	s_cbranch_execnz .LBB4_710
.LBB4_709:                              ;   in Loop: Header=BB4_678 Depth=2
	global_load_dwordx2 v[21:22], v2, s[0:1]
	s_add_i32 s25, s24, -8
.LBB4_710:                              ;   in Loop: Header=BB4_678 Depth=2
	s_add_u32 s0, s20, 8
	s_addc_u32 s1, s21, 0
	s_cmp_gt_u32 s25, 7
	s_cbranch_scc1 .LBB4_714
; %bb.711:                              ;   in Loop: Header=BB4_678 Depth=2
	s_cmp_eq_u32 s25, 0
	s_cbranch_scc1 .LBB4_715
; %bb.712:                              ;   in Loop: Header=BB4_678 Depth=2
	v_mov_b32_e32 v23, 0
	s_mov_b64 s[0:1], 0
	v_mov_b32_e32 v24, 0
	s_mov_b64 s[22:23], 0
.LBB4_713:                              ;   Parent Loop BB4_3 Depth=1
                                        ;     Parent Loop BB4_678 Depth=2
                                        ; =>    This Inner Loop Header: Depth=3
	s_add_u32 s26, s20, s22
	s_addc_u32 s27, s21, s23
	global_load_ubyte v1, v2, s[26:27]
	s_add_u32 s22, s22, 1
	s_addc_u32 s23, s23, 0
	s_waitcnt vmcnt(0)
	v_and_b32_e32 v1, 0xffff, v1
	v_lshlrev_b64 v[3:4], s0, v[1:2]
	s_add_u32 s0, s0, 8
	s_addc_u32 s1, s1, 0
	v_or_b32_e32 v23, v3, v23
	s_cmp_lg_u32 s25, s22
	v_or_b32_e32 v24, v4, v24
	s_cbranch_scc1 .LBB4_713
	s_branch .LBB4_716
.LBB4_714:                              ;   in Loop: Header=BB4_678 Depth=2
	s_mov_b32 s24, 0
	s_branch .LBB4_717
.LBB4_715:                              ;   in Loop: Header=BB4_678 Depth=2
	v_mov_b32_e32 v23, 0
	v_mov_b32_e32 v24, 0
.LBB4_716:                              ;   in Loop: Header=BB4_678 Depth=2
	s_mov_b64 s[0:1], s[20:21]
	s_mov_b32 s24, 0
	s_cbranch_execnz .LBB4_718
.LBB4_717:                              ;   in Loop: Header=BB4_678 Depth=2
	global_load_dwordx2 v[23:24], v2, s[20:21]
	s_add_i32 s24, s25, -8
.LBB4_718:                              ;   in Loop: Header=BB4_678 Depth=2
	s_add_u32 s20, s0, 8
	s_addc_u32 s21, s1, 0
	s_cmp_gt_u32 s24, 7
	s_cbranch_scc1 .LBB4_722
; %bb.719:                              ;   in Loop: Header=BB4_678 Depth=2
	s_cmp_eq_u32 s24, 0
	s_cbranch_scc1 .LBB4_723
; %bb.720:                              ;   in Loop: Header=BB4_678 Depth=2
	v_mov_b32_e32 v25, 0
	s_mov_b64 s[20:21], 0
	v_mov_b32_e32 v26, 0
	s_mov_b64 s[22:23], 0
.LBB4_721:                              ;   Parent Loop BB4_3 Depth=1
                                        ;     Parent Loop BB4_678 Depth=2
                                        ; =>    This Inner Loop Header: Depth=3
	s_add_u32 s26, s0, s22
	s_addc_u32 s27, s1, s23
	global_load_ubyte v1, v2, s[26:27]
	s_add_u32 s22, s22, 1
	s_addc_u32 s23, s23, 0
	s_waitcnt vmcnt(0)
	v_and_b32_e32 v1, 0xffff, v1
	v_lshlrev_b64 v[3:4], s20, v[1:2]
	s_add_u32 s20, s20, 8
	s_addc_u32 s21, s21, 0
	v_or_b32_e32 v25, v3, v25
	s_cmp_lg_u32 s24, s22
	v_or_b32_e32 v26, v4, v26
	s_cbranch_scc1 .LBB4_721
	s_branch .LBB4_724
.LBB4_722:                              ;   in Loop: Header=BB4_678 Depth=2
                                        ; implicit-def: $vgpr25_vgpr26
	s_mov_b32 s25, 0
	s_branch .LBB4_725
.LBB4_723:                              ;   in Loop: Header=BB4_678 Depth=2
	v_mov_b32_e32 v25, 0
	v_mov_b32_e32 v26, 0
.LBB4_724:                              ;   in Loop: Header=BB4_678 Depth=2
	s_mov_b64 s[20:21], s[0:1]
	s_mov_b32 s25, 0
	s_cbranch_execnz .LBB4_726
.LBB4_725:                              ;   in Loop: Header=BB4_678 Depth=2
	global_load_dwordx2 v[25:26], v2, s[0:1]
	s_add_i32 s25, s24, -8
.LBB4_726:                              ;   in Loop: Header=BB4_678 Depth=2
	s_cmp_gt_u32 s25, 7
	s_cbranch_scc1 .LBB4_730
; %bb.727:                              ;   in Loop: Header=BB4_678 Depth=2
	s_cmp_eq_u32 s25, 0
	s_cbranch_scc1 .LBB4_731
; %bb.728:                              ;   in Loop: Header=BB4_678 Depth=2
	v_mov_b32_e32 v27, 0
	s_mov_b64 s[0:1], 0
	v_mov_b32_e32 v28, 0
	s_mov_b64 s[22:23], s[20:21]
.LBB4_729:                              ;   Parent Loop BB4_3 Depth=1
                                        ;     Parent Loop BB4_678 Depth=2
                                        ; =>    This Inner Loop Header: Depth=3
	global_load_ubyte v1, v2, s[22:23]
	s_add_i32 s25, s25, -1
	s_waitcnt vmcnt(0)
	v_and_b32_e32 v1, 0xffff, v1
	v_lshlrev_b64 v[3:4], s0, v[1:2]
	s_add_u32 s0, s0, 8
	s_addc_u32 s1, s1, 0
	s_add_u32 s22, s22, 1
	s_addc_u32 s23, s23, 0
	v_or_b32_e32 v27, v3, v27
	s_cmp_lg_u32 s25, 0
	v_or_b32_e32 v28, v4, v28
	s_cbranch_scc1 .LBB4_729
	s_branch .LBB4_732
.LBB4_730:                              ;   in Loop: Header=BB4_678 Depth=2
	s_branch .LBB4_733
.LBB4_731:                              ;   in Loop: Header=BB4_678 Depth=2
	v_mov_b32_e32 v27, 0
	v_mov_b32_e32 v28, 0
.LBB4_732:                              ;   in Loop: Header=BB4_678 Depth=2
	s_cbranch_execnz .LBB4_734
.LBB4_733:                              ;   in Loop: Header=BB4_678 Depth=2
	global_load_dwordx2 v[27:28], v2, s[20:21]
.LBB4_734:                              ;   in Loop: Header=BB4_678 Depth=2
	v_readfirstlane_b32 s0, v40
	v_mov_b32_e32 v3, 0
	v_mov_b32_e32 v4, 0
	v_cmp_eq_u32_e64 s[0:1], s0, v40
	s_and_saveexec_b64 s[20:21], s[0:1]
	s_cbranch_execz .LBB4_740
; %bb.735:                              ;   in Loop: Header=BB4_678 Depth=2
	global_load_dwordx2 v[31:32], v2, s[2:3] offset:24 glc
	s_waitcnt vmcnt(0)
	buffer_wbinvl1_vol
	global_load_dwordx2 v[3:4], v2, s[2:3] offset:40
	global_load_dwordx2 v[7:8], v2, s[2:3]
	s_waitcnt vmcnt(1)
	v_and_b32_e32 v1, v3, v31
	v_and_b32_e32 v3, v4, v32
	v_mul_lo_u32 v3, v3, 24
	v_mul_hi_u32 v4, v1, 24
	v_mul_lo_u32 v1, v1, 24
	v_add_u32_e32 v4, v4, v3
	s_waitcnt vmcnt(0)
	v_add_co_u32_e32 v3, vcc, v7, v1
	v_addc_co_u32_e32 v4, vcc, v8, v4, vcc
	global_load_dwordx2 v[29:30], v[3:4], off glc
	s_waitcnt vmcnt(0)
	global_atomic_cmpswap_x2 v[3:4], v2, v[29:32], s[2:3] offset:24 glc
	s_waitcnt vmcnt(0)
	buffer_wbinvl1_vol
	v_cmp_ne_u64_e32 vcc, v[3:4], v[31:32]
	s_and_saveexec_b64 s[22:23], vcc
	s_cbranch_execz .LBB4_739
; %bb.736:                              ;   in Loop: Header=BB4_678 Depth=2
	s_mov_b64 s[24:25], 0
.LBB4_737:                              ;   Parent Loop BB4_3 Depth=1
                                        ;     Parent Loop BB4_678 Depth=2
                                        ; =>    This Inner Loop Header: Depth=3
	s_sleep 1
	global_load_dwordx2 v[7:8], v2, s[2:3] offset:40
	global_load_dwordx2 v[29:30], v2, s[2:3]
	v_mov_b32_e32 v32, v4
	v_mov_b32_e32 v31, v3
	s_waitcnt vmcnt(1)
	v_and_b32_e32 v1, v7, v31
	s_waitcnt vmcnt(0)
	v_mad_u64_u32 v[3:4], s[26:27], v1, 24, v[29:30]
	v_and_b32_e32 v7, v8, v32
	v_mov_b32_e32 v1, v4
	v_mad_u64_u32 v[7:8], s[26:27], v7, 24, v[1:2]
	v_mov_b32_e32 v4, v7
	global_load_dwordx2 v[29:30], v[3:4], off glc
	s_waitcnt vmcnt(0)
	global_atomic_cmpswap_x2 v[3:4], v2, v[29:32], s[2:3] offset:24 glc
	s_waitcnt vmcnt(0)
	buffer_wbinvl1_vol
	v_cmp_eq_u64_e32 vcc, v[3:4], v[31:32]
	s_or_b64 s[24:25], vcc, s[24:25]
	s_andn2_b64 exec, exec, s[24:25]
	s_cbranch_execnz .LBB4_737
; %bb.738:                              ;   in Loop: Header=BB4_678 Depth=2
	s_or_b64 exec, exec, s[24:25]
.LBB4_739:                              ;   in Loop: Header=BB4_678 Depth=2
	s_or_b64 exec, exec, s[22:23]
.LBB4_740:                              ;   in Loop: Header=BB4_678 Depth=2
	s_or_b64 exec, exec, s[20:21]
	global_load_dwordx2 v[7:8], v2, s[2:3] offset:40
	global_load_dwordx4 v[29:32], v2, s[2:3]
	v_readfirstlane_b32 s21, v4
	v_readfirstlane_b32 s20, v3
	s_mov_b64 s[22:23], exec
	s_waitcnt vmcnt(1)
	v_readfirstlane_b32 s24, v7
	v_readfirstlane_b32 s25, v8
	s_and_b64 s[24:25], s[24:25], s[20:21]
	s_mul_i32 s26, s25, 24
	s_mul_hi_u32 s27, s24, 24
	s_mul_i32 s33, s24, 24
	s_add_i32 s26, s27, s26
	v_mov_b32_e32 v1, s26
	s_waitcnt vmcnt(0)
	v_add_co_u32_e32 v7, vcc, s33, v29
	v_addc_co_u32_e32 v8, vcc, v30, v1, vcc
	s_and_saveexec_b64 s[26:27], s[0:1]
	s_cbranch_execz .LBB4_742
; %bb.741:                              ;   in Loop: Header=BB4_678 Depth=2
	v_mov_b32_e32 v3, s22
	v_mov_b32_e32 v4, s23
	global_store_dwordx4 v[7:8], v[3:6], off offset:8
.LBB4_742:                              ;   in Loop: Header=BB4_678 Depth=2
	s_or_b64 exec, exec, s[26:27]
	s_lshl_b64 s[22:23], s[24:25], 12
	v_mov_b32_e32 v1, s23
	v_add_co_u32_e32 v31, vcc, s22, v31
	v_addc_co_u32_e32 v32, vcc, v32, v1, vcc
	v_cmp_lt_u64_e64 vcc, s[16:17], 57
	v_and_b32_e32 v1, 2, v15
	s_lshl_b32 s22, s18, 2
	v_cndmask_b32_e32 v1, 0, v1, vcc
	s_add_i32 s22, s22, 28
	v_and_b32_e32 v3, 0xffffff1f, v10
	s_and_b32 s22, s22, 0x1e0
	v_or_b32_e32 v1, v3, v1
	v_or_b32_e32 v10, s22, v1
	v_readfirstlane_b32 s22, v31
	v_readfirstlane_b32 s23, v32
	s_nop 4
	global_store_dwordx4 v43, v[10:13], s[22:23]
	global_store_dwordx4 v43, v[17:20], s[22:23] offset:16
	global_store_dwordx4 v43, v[21:24], s[22:23] offset:32
	;; [unrolled: 1-line block ×3, first 2 shown]
	s_and_saveexec_b64 s[22:23], s[0:1]
	s_cbranch_execz .LBB4_750
; %bb.743:                              ;   in Loop: Header=BB4_678 Depth=2
	global_load_dwordx2 v[19:20], v2, s[2:3] offset:32 glc
	global_load_dwordx2 v[3:4], v2, s[2:3] offset:40
	v_mov_b32_e32 v17, s20
	v_mov_b32_e32 v18, s21
	s_waitcnt vmcnt(0)
	v_readfirstlane_b32 s24, v3
	v_readfirstlane_b32 s25, v4
	s_and_b64 s[24:25], s[24:25], s[20:21]
	s_mul_i32 s25, s25, 24
	s_mul_hi_u32 s26, s24, 24
	s_mul_i32 s24, s24, 24
	s_add_i32 s25, s26, s25
	v_mov_b32_e32 v1, s25
	v_add_co_u32_e32 v3, vcc, s24, v29
	v_addc_co_u32_e32 v4, vcc, v30, v1, vcc
	global_store_dwordx2 v[3:4], v[19:20], off
	s_waitcnt vmcnt(0)
	global_atomic_cmpswap_x2 v[12:13], v2, v[17:20], s[2:3] offset:32 glc
	s_waitcnt vmcnt(0)
	v_cmp_ne_u64_e32 vcc, v[12:13], v[19:20]
	s_and_saveexec_b64 s[24:25], vcc
	s_cbranch_execz .LBB4_746
; %bb.744:                              ;   in Loop: Header=BB4_678 Depth=2
	s_mov_b64 s[26:27], 0
.LBB4_745:                              ;   Parent Loop BB4_3 Depth=1
                                        ;     Parent Loop BB4_678 Depth=2
                                        ; =>    This Inner Loop Header: Depth=3
	s_sleep 1
	global_store_dwordx2 v[3:4], v[12:13], off
	v_mov_b32_e32 v10, s20
	v_mov_b32_e32 v11, s21
	s_waitcnt vmcnt(0)
	global_atomic_cmpswap_x2 v[10:11], v2, v[10:13], s[2:3] offset:32 glc
	s_waitcnt vmcnt(0)
	v_cmp_eq_u64_e32 vcc, v[10:11], v[12:13]
	v_mov_b32_e32 v13, v11
	s_or_b64 s[26:27], vcc, s[26:27]
	v_mov_b32_e32 v12, v10
	s_andn2_b64 exec, exec, s[26:27]
	s_cbranch_execnz .LBB4_745
.LBB4_746:                              ;   in Loop: Header=BB4_678 Depth=2
	s_or_b64 exec, exec, s[24:25]
	global_load_dwordx2 v[3:4], v2, s[2:3] offset:16
	s_mov_b64 s[26:27], exec
	v_mbcnt_lo_u32_b32 v1, s26, 0
	v_mbcnt_hi_u32_b32 v1, s27, v1
	v_cmp_eq_u32_e32 vcc, 0, v1
	s_and_saveexec_b64 s[24:25], vcc
	s_cbranch_execz .LBB4_748
; %bb.747:                              ;   in Loop: Header=BB4_678 Depth=2
	s_bcnt1_i32_b64 s26, s[26:27]
	v_mov_b32_e32 v1, s26
	s_waitcnt vmcnt(0)
	global_atomic_add_x2 v[3:4], v[1:2], off offset:8
.LBB4_748:                              ;   in Loop: Header=BB4_678 Depth=2
	s_or_b64 exec, exec, s[24:25]
	s_waitcnt vmcnt(0)
	global_load_dwordx2 v[10:11], v[3:4], off offset:16
	s_waitcnt vmcnt(0)
	v_cmp_eq_u64_e32 vcc, 0, v[10:11]
	s_cbranch_vccnz .LBB4_750
; %bb.749:                              ;   in Loop: Header=BB4_678 Depth=2
	global_load_dword v1, v[3:4], off offset:24
	s_waitcnt vmcnt(0)
	v_readfirstlane_b32 s24, v1
	s_and_b32 m0, s24, 0xffffff
	global_store_dwordx2 v[10:11], v[1:2], off
	s_sendmsg sendmsg(MSG_INTERRUPT)
.LBB4_750:                              ;   in Loop: Header=BB4_678 Depth=2
	s_or_b64 exec, exec, s[22:23]
	v_add_co_u32_e32 v3, vcc, v31, v43
	v_addc_co_u32_e32 v4, vcc, 0, v32, vcc
	s_branch .LBB4_754
.LBB4_751:                              ;   in Loop: Header=BB4_754 Depth=3
	s_or_b64 exec, exec, s[22:23]
	v_readfirstlane_b32 s22, v1
	s_cmp_eq_u32 s22, 0
	s_cbranch_scc1 .LBB4_753
; %bb.752:                              ;   in Loop: Header=BB4_754 Depth=3
	s_sleep 1
	s_cbranch_execnz .LBB4_754
	s_branch .LBB4_756
.LBB4_753:                              ;   in Loop: Header=BB4_678 Depth=2
	s_branch .LBB4_756
.LBB4_754:                              ;   Parent Loop BB4_3 Depth=1
                                        ;     Parent Loop BB4_678 Depth=2
                                        ; =>    This Inner Loop Header: Depth=3
	v_mov_b32_e32 v1, 1
	s_and_saveexec_b64 s[22:23], s[0:1]
	s_cbranch_execz .LBB4_751
; %bb.755:                              ;   in Loop: Header=BB4_754 Depth=3
	global_load_dword v1, v[7:8], off offset:20 glc
	s_waitcnt vmcnt(0)
	buffer_wbinvl1_vol
	v_and_b32_e32 v1, 1, v1
	s_branch .LBB4_751
.LBB4_756:                              ;   in Loop: Header=BB4_678 Depth=2
	global_load_dwordx2 v[10:11], v[3:4], off
	s_and_saveexec_b64 s[22:23], s[0:1]
	s_cbranch_execz .LBB4_677
; %bb.757:                              ;   in Loop: Header=BB4_678 Depth=2
	global_load_dwordx2 v[3:4], v2, s[2:3] offset:40
	global_load_dwordx2 v[21:22], v2, s[2:3] offset:24 glc
	global_load_dwordx2 v[7:8], v2, s[2:3]
	s_waitcnt vmcnt(2)
	v_readfirstlane_b32 s24, v3
	v_readfirstlane_b32 s25, v4
	s_add_u32 s26, s24, 1
	s_addc_u32 s27, s25, 0
	s_add_u32 s0, s26, s20
	s_addc_u32 s1, s27, s21
	s_cmp_eq_u64 s[0:1], 0
	s_cselect_b32 s1, s27, s1
	s_cselect_b32 s0, s26, s0
	s_and_b64 s[20:21], s[0:1], s[24:25]
	s_mul_i32 s21, s21, 24
	s_mul_hi_u32 s24, s20, 24
	s_mul_i32 s20, s20, 24
	s_add_i32 s21, s24, s21
	v_mov_b32_e32 v1, s21
	s_waitcnt vmcnt(0)
	v_add_co_u32_e32 v3, vcc, s20, v7
	v_addc_co_u32_e32 v4, vcc, v8, v1, vcc
	v_mov_b32_e32 v19, s0
	global_store_dwordx2 v[3:4], v[21:22], off
	v_mov_b32_e32 v20, s1
	s_waitcnt vmcnt(0)
	global_atomic_cmpswap_x2 v[19:20], v2, v[19:22], s[2:3] offset:24 glc
	s_waitcnt vmcnt(0)
	v_cmp_ne_u64_e32 vcc, v[19:20], v[21:22]
	s_and_b64 exec, exec, vcc
	s_cbranch_execz .LBB4_677
; %bb.758:                              ;   in Loop: Header=BB4_678 Depth=2
	s_mov_b64 s[20:21], 0
.LBB4_759:                              ;   Parent Loop BB4_3 Depth=1
                                        ;     Parent Loop BB4_678 Depth=2
                                        ; =>    This Inner Loop Header: Depth=3
	s_sleep 1
	global_store_dwordx2 v[3:4], v[19:20], off
	v_mov_b32_e32 v17, s0
	v_mov_b32_e32 v18, s1
	s_waitcnt vmcnt(0)
	global_atomic_cmpswap_x2 v[7:8], v2, v[17:20], s[2:3] offset:24 glc
	s_waitcnt vmcnt(0)
	v_cmp_eq_u64_e32 vcc, v[7:8], v[19:20]
	v_mov_b32_e32 v20, v8
	s_or_b64 s[20:21], vcc, s[20:21]
	v_mov_b32_e32 v19, v7
	s_andn2_b64 exec, exec, s[20:21]
	s_cbranch_execnz .LBB4_759
	s_branch .LBB4_677
.LBB4_760:                              ;   in Loop: Header=BB4_3 Depth=1
	s_branch .LBB4_817
.LBB4_761:                              ;   in Loop: Header=BB4_3 Depth=1
                                        ; implicit-def: $vgpr15_vgpr16
	s_cbranch_execz .LBB4_675
; %bb.762:                              ;   in Loop: Header=BB4_3 Depth=1
	v_readfirstlane_b32 s0, v40
	v_mov_b32_e32 v3, 0
	v_mov_b32_e32 v4, 0
	v_cmp_eq_u32_e64 s[0:1], s0, v40
	s_and_saveexec_b64 s[14:15], s[0:1]
	s_cbranch_execz .LBB4_768
; %bb.763:                              ;   in Loop: Header=BB4_3 Depth=1
	global_load_dwordx2 v[17:18], v2, s[2:3] offset:24 glc
	s_waitcnt vmcnt(0)
	buffer_wbinvl1_vol
	global_load_dwordx2 v[3:4], v2, s[2:3] offset:40
	global_load_dwordx2 v[7:8], v2, s[2:3]
	s_waitcnt vmcnt(1)
	v_and_b32_e32 v1, v3, v17
	v_and_b32_e32 v3, v4, v18
	v_mul_lo_u32 v3, v3, 24
	v_mul_hi_u32 v4, v1, 24
	v_mul_lo_u32 v1, v1, 24
	v_add_u32_e32 v4, v4, v3
	s_waitcnt vmcnt(0)
	v_add_co_u32_e32 v3, vcc, v7, v1
	v_addc_co_u32_e32 v4, vcc, v8, v4, vcc
	global_load_dwordx2 v[15:16], v[3:4], off glc
	s_waitcnt vmcnt(0)
	global_atomic_cmpswap_x2 v[3:4], v2, v[15:18], s[2:3] offset:24 glc
	s_waitcnt vmcnt(0)
	buffer_wbinvl1_vol
	v_cmp_ne_u64_e32 vcc, v[3:4], v[17:18]
	s_and_saveexec_b64 s[16:17], vcc
	s_cbranch_execz .LBB4_767
; %bb.764:                              ;   in Loop: Header=BB4_3 Depth=1
	s_mov_b64 s[18:19], 0
.LBB4_765:                              ;   Parent Loop BB4_3 Depth=1
                                        ; =>  This Inner Loop Header: Depth=2
	s_sleep 1
	global_load_dwordx2 v[7:8], v2, s[2:3] offset:40
	global_load_dwordx2 v[12:13], v2, s[2:3]
	v_mov_b32_e32 v18, v4
	v_mov_b32_e32 v17, v3
	s_waitcnt vmcnt(1)
	v_and_b32_e32 v1, v7, v17
	s_waitcnt vmcnt(0)
	v_mad_u64_u32 v[3:4], s[20:21], v1, 24, v[12:13]
	v_and_b32_e32 v7, v8, v18
	v_mov_b32_e32 v1, v4
	v_mad_u64_u32 v[7:8], s[20:21], v7, 24, v[1:2]
	v_mov_b32_e32 v4, v7
	global_load_dwordx2 v[15:16], v[3:4], off glc
	s_waitcnt vmcnt(0)
	global_atomic_cmpswap_x2 v[3:4], v2, v[15:18], s[2:3] offset:24 glc
	s_waitcnt vmcnt(0)
	buffer_wbinvl1_vol
	v_cmp_eq_u64_e32 vcc, v[3:4], v[17:18]
	s_or_b64 s[18:19], vcc, s[18:19]
	s_andn2_b64 exec, exec, s[18:19]
	s_cbranch_execnz .LBB4_765
; %bb.766:                              ;   in Loop: Header=BB4_3 Depth=1
	s_or_b64 exec, exec, s[18:19]
.LBB4_767:                              ;   in Loop: Header=BB4_3 Depth=1
	s_or_b64 exec, exec, s[16:17]
.LBB4_768:                              ;   in Loop: Header=BB4_3 Depth=1
	s_or_b64 exec, exec, s[14:15]
	global_load_dwordx2 v[7:8], v2, s[2:3] offset:40
	global_load_dwordx4 v[15:18], v2, s[2:3]
	v_readfirstlane_b32 s15, v4
	v_readfirstlane_b32 s14, v3
	s_mov_b64 s[16:17], exec
	s_waitcnt vmcnt(1)
	v_readfirstlane_b32 s18, v7
	v_readfirstlane_b32 s19, v8
	s_and_b64 s[18:19], s[18:19], s[14:15]
	s_mul_i32 s20, s19, 24
	s_mul_hi_u32 s21, s18, 24
	s_mul_i32 s22, s18, 24
	s_add_i32 s20, s21, s20
	v_mov_b32_e32 v1, s20
	s_waitcnt vmcnt(0)
	v_add_co_u32_e32 v7, vcc, s22, v15
	v_addc_co_u32_e32 v8, vcc, v16, v1, vcc
	s_and_saveexec_b64 s[20:21], s[0:1]
	s_cbranch_execz .LBB4_770
; %bb.769:                              ;   in Loop: Header=BB4_3 Depth=1
	v_mov_b32_e32 v3, s16
	v_mov_b32_e32 v4, s17
	global_store_dwordx4 v[7:8], v[3:6], off offset:8
.LBB4_770:                              ;   in Loop: Header=BB4_3 Depth=1
	s_or_b64 exec, exec, s[20:21]
	s_lshl_b64 s[16:17], s[18:19], 12
	v_mov_b32_e32 v1, s17
	v_add_co_u32_e32 v17, vcc, s16, v17
	v_addc_co_u32_e32 v18, vcc, v18, v1, vcc
	v_and_or_b32 v10, v10, s29, 32
	v_mov_b32_e32 v12, v2
	v_mov_b32_e32 v13, v2
	v_readfirstlane_b32 s16, v17
	v_readfirstlane_b32 s17, v18
	s_nop 4
	global_store_dwordx4 v43, v[10:13], s[16:17]
	s_nop 0
	v_mov_b32_e32 v13, s11
	v_mov_b32_e32 v12, s10
	;; [unrolled: 1-line block ×4, first 2 shown]
	global_store_dwordx4 v43, v[10:13], s[16:17] offset:16
	global_store_dwordx4 v43, v[10:13], s[16:17] offset:32
	;; [unrolled: 1-line block ×3, first 2 shown]
	s_and_saveexec_b64 s[16:17], s[0:1]
	s_cbranch_execz .LBB4_778
; %bb.771:                              ;   in Loop: Header=BB4_3 Depth=1
	global_load_dwordx2 v[21:22], v2, s[2:3] offset:32 glc
	global_load_dwordx2 v[3:4], v2, s[2:3] offset:40
	v_mov_b32_e32 v19, s14
	v_mov_b32_e32 v20, s15
	s_waitcnt vmcnt(0)
	v_readfirstlane_b32 s18, v3
	v_readfirstlane_b32 s19, v4
	s_and_b64 s[18:19], s[18:19], s[14:15]
	s_mul_i32 s19, s19, 24
	s_mul_hi_u32 s20, s18, 24
	s_mul_i32 s18, s18, 24
	s_add_i32 s19, s20, s19
	v_mov_b32_e32 v1, s19
	v_add_co_u32_e32 v3, vcc, s18, v15
	v_addc_co_u32_e32 v4, vcc, v16, v1, vcc
	global_store_dwordx2 v[3:4], v[21:22], off
	s_waitcnt vmcnt(0)
	global_atomic_cmpswap_x2 v[12:13], v2, v[19:22], s[2:3] offset:32 glc
	s_waitcnt vmcnt(0)
	v_cmp_ne_u64_e32 vcc, v[12:13], v[21:22]
	s_and_saveexec_b64 s[18:19], vcc
	s_cbranch_execz .LBB4_774
; %bb.772:                              ;   in Loop: Header=BB4_3 Depth=1
	s_mov_b64 s[20:21], 0
.LBB4_773:                              ;   Parent Loop BB4_3 Depth=1
                                        ; =>  This Inner Loop Header: Depth=2
	s_sleep 1
	global_store_dwordx2 v[3:4], v[12:13], off
	v_mov_b32_e32 v10, s14
	v_mov_b32_e32 v11, s15
	s_waitcnt vmcnt(0)
	global_atomic_cmpswap_x2 v[10:11], v2, v[10:13], s[2:3] offset:32 glc
	s_waitcnt vmcnt(0)
	v_cmp_eq_u64_e32 vcc, v[10:11], v[12:13]
	v_mov_b32_e32 v13, v11
	s_or_b64 s[20:21], vcc, s[20:21]
	v_mov_b32_e32 v12, v10
	s_andn2_b64 exec, exec, s[20:21]
	s_cbranch_execnz .LBB4_773
.LBB4_774:                              ;   in Loop: Header=BB4_3 Depth=1
	s_or_b64 exec, exec, s[18:19]
	global_load_dwordx2 v[3:4], v2, s[2:3] offset:16
	s_mov_b64 s[20:21], exec
	v_mbcnt_lo_u32_b32 v1, s20, 0
	v_mbcnt_hi_u32_b32 v1, s21, v1
	v_cmp_eq_u32_e32 vcc, 0, v1
	s_and_saveexec_b64 s[18:19], vcc
	s_cbranch_execz .LBB4_776
; %bb.775:                              ;   in Loop: Header=BB4_3 Depth=1
	s_bcnt1_i32_b64 s20, s[20:21]
	v_mov_b32_e32 v1, s20
	s_waitcnt vmcnt(0)
	global_atomic_add_x2 v[3:4], v[1:2], off offset:8
.LBB4_776:                              ;   in Loop: Header=BB4_3 Depth=1
	s_or_b64 exec, exec, s[18:19]
	s_waitcnt vmcnt(0)
	global_load_dwordx2 v[10:11], v[3:4], off offset:16
	s_waitcnt vmcnt(0)
	v_cmp_eq_u64_e32 vcc, 0, v[10:11]
	s_cbranch_vccnz .LBB4_778
; %bb.777:                              ;   in Loop: Header=BB4_3 Depth=1
	global_load_dword v1, v[3:4], off offset:24
	s_waitcnt vmcnt(0)
	v_readfirstlane_b32 s18, v1
	s_and_b32 m0, s18, 0xffffff
	global_store_dwordx2 v[10:11], v[1:2], off
	s_sendmsg sendmsg(MSG_INTERRUPT)
.LBB4_778:                              ;   in Loop: Header=BB4_3 Depth=1
	s_or_b64 exec, exec, s[16:17]
	v_add_co_u32_e32 v3, vcc, v17, v43
	v_addc_co_u32_e32 v4, vcc, 0, v18, vcc
	s_branch .LBB4_782
.LBB4_779:                              ;   in Loop: Header=BB4_782 Depth=2
	s_or_b64 exec, exec, s[16:17]
	v_readfirstlane_b32 s16, v1
	s_cmp_eq_u32 s16, 0
	s_cbranch_scc1 .LBB4_781
; %bb.780:                              ;   in Loop: Header=BB4_782 Depth=2
	s_sleep 1
	s_cbranch_execnz .LBB4_782
	s_branch .LBB4_784
.LBB4_781:                              ;   in Loop: Header=BB4_3 Depth=1
	s_branch .LBB4_784
.LBB4_782:                              ;   Parent Loop BB4_3 Depth=1
                                        ; =>  This Inner Loop Header: Depth=2
	v_mov_b32_e32 v1, 1
	s_and_saveexec_b64 s[16:17], s[0:1]
	s_cbranch_execz .LBB4_779
; %bb.783:                              ;   in Loop: Header=BB4_782 Depth=2
	global_load_dword v1, v[7:8], off offset:20 glc
	s_waitcnt vmcnt(0)
	buffer_wbinvl1_vol
	v_and_b32_e32 v1, 1, v1
	s_branch .LBB4_779
.LBB4_784:                              ;   in Loop: Header=BB4_3 Depth=1
	global_load_dwordx2 v[15:16], v[3:4], off
	s_and_saveexec_b64 s[16:17], s[0:1]
	s_cbranch_execz .LBB4_788
; %bb.785:                              ;   in Loop: Header=BB4_3 Depth=1
	global_load_dwordx2 v[3:4], v2, s[2:3] offset:40
	global_load_dwordx2 v[19:20], v2, s[2:3] offset:24 glc
	global_load_dwordx2 v[7:8], v2, s[2:3]
	s_waitcnt vmcnt(2)
	v_readfirstlane_b32 s18, v3
	v_readfirstlane_b32 s19, v4
	s_add_u32 s20, s18, 1
	s_addc_u32 s21, s19, 0
	s_add_u32 s0, s20, s14
	s_addc_u32 s1, s21, s15
	s_cmp_eq_u64 s[0:1], 0
	s_cselect_b32 s1, s21, s1
	s_cselect_b32 s0, s20, s0
	s_and_b64 s[14:15], s[0:1], s[18:19]
	s_mul_i32 s15, s15, 24
	s_mul_hi_u32 s18, s14, 24
	s_mul_i32 s14, s14, 24
	s_add_i32 s15, s18, s15
	v_mov_b32_e32 v1, s15
	s_waitcnt vmcnt(0)
	v_add_co_u32_e32 v3, vcc, s14, v7
	v_addc_co_u32_e32 v4, vcc, v8, v1, vcc
	v_mov_b32_e32 v17, s0
	global_store_dwordx2 v[3:4], v[19:20], off
	v_mov_b32_e32 v18, s1
	s_waitcnt vmcnt(0)
	global_atomic_cmpswap_x2 v[12:13], v2, v[17:20], s[2:3] offset:24 glc
	s_waitcnt vmcnt(0)
	v_cmp_ne_u64_e32 vcc, v[12:13], v[19:20]
	s_and_b64 exec, exec, vcc
	s_cbranch_execz .LBB4_788
; %bb.786:                              ;   in Loop: Header=BB4_3 Depth=1
	s_mov_b64 s[14:15], 0
.LBB4_787:                              ;   Parent Loop BB4_3 Depth=1
                                        ; =>  This Inner Loop Header: Depth=2
	s_sleep 1
	global_store_dwordx2 v[3:4], v[12:13], off
	v_mov_b32_e32 v10, s0
	v_mov_b32_e32 v11, s1
	s_waitcnt vmcnt(0)
	global_atomic_cmpswap_x2 v[7:8], v2, v[10:13], s[2:3] offset:24 glc
	s_waitcnt vmcnt(0)
	v_cmp_eq_u64_e32 vcc, v[7:8], v[12:13]
	v_mov_b32_e32 v13, v8
	s_or_b64 s[14:15], vcc, s[14:15]
	v_mov_b32_e32 v12, v7
	s_andn2_b64 exec, exec, s[14:15]
	s_cbranch_execnz .LBB4_787
.LBB4_788:                              ;   in Loop: Header=BB4_3 Depth=1
	s_or_b64 exec, exec, s[16:17]
	s_and_b64 vcc, exec, s[12:13]
	s_cbranch_vccnz .LBB4_676
.LBB4_789:                              ;   in Loop: Header=BB4_3 Depth=1
                                        ; implicit-def: $vgpr10_vgpr11
	s_cbranch_execz .LBB4_817
; %bb.790:                              ;   in Loop: Header=BB4_3 Depth=1
	v_readfirstlane_b32 s0, v40
	v_mov_b32_e32 v3, 0
	v_mov_b32_e32 v4, 0
	v_cmp_eq_u32_e64 s[0:1], s0, v40
	s_and_saveexec_b64 s[14:15], s[0:1]
	s_cbranch_execz .LBB4_796
; %bb.791:                              ;   in Loop: Header=BB4_3 Depth=1
	global_load_dwordx2 v[12:13], v2, s[2:3] offset:24 glc
	s_waitcnt vmcnt(0)
	buffer_wbinvl1_vol
	global_load_dwordx2 v[3:4], v2, s[2:3] offset:40
	global_load_dwordx2 v[7:8], v2, s[2:3]
	s_waitcnt vmcnt(1)
	v_and_b32_e32 v1, v3, v12
	v_and_b32_e32 v3, v4, v13
	v_mul_lo_u32 v3, v3, 24
	v_mul_hi_u32 v4, v1, 24
	v_mul_lo_u32 v1, v1, 24
	v_add_u32_e32 v4, v4, v3
	s_waitcnt vmcnt(0)
	v_add_co_u32_e32 v3, vcc, v7, v1
	v_addc_co_u32_e32 v4, vcc, v8, v4, vcc
	global_load_dwordx2 v[10:11], v[3:4], off glc
	s_waitcnt vmcnt(0)
	global_atomic_cmpswap_x2 v[3:4], v2, v[10:13], s[2:3] offset:24 glc
	s_waitcnt vmcnt(0)
	buffer_wbinvl1_vol
	v_cmp_ne_u64_e32 vcc, v[3:4], v[12:13]
	s_and_saveexec_b64 s[16:17], vcc
	s_cbranch_execz .LBB4_795
; %bb.792:                              ;   in Loop: Header=BB4_3 Depth=1
	s_mov_b64 s[18:19], 0
.LBB4_793:                              ;   Parent Loop BB4_3 Depth=1
                                        ; =>  This Inner Loop Header: Depth=2
	s_sleep 1
	global_load_dwordx2 v[7:8], v2, s[2:3] offset:40
	global_load_dwordx2 v[10:11], v2, s[2:3]
	v_mov_b32_e32 v13, v4
	v_mov_b32_e32 v12, v3
	s_waitcnt vmcnt(1)
	v_and_b32_e32 v1, v7, v12
	s_waitcnt vmcnt(0)
	v_mad_u64_u32 v[3:4], s[20:21], v1, 24, v[10:11]
	v_and_b32_e32 v7, v8, v13
	v_mov_b32_e32 v1, v4
	v_mad_u64_u32 v[7:8], s[20:21], v7, 24, v[1:2]
	v_mov_b32_e32 v4, v7
	global_load_dwordx2 v[10:11], v[3:4], off glc
	s_waitcnt vmcnt(0)
	global_atomic_cmpswap_x2 v[3:4], v2, v[10:13], s[2:3] offset:24 glc
	s_waitcnt vmcnt(0)
	buffer_wbinvl1_vol
	v_cmp_eq_u64_e32 vcc, v[3:4], v[12:13]
	s_or_b64 s[18:19], vcc, s[18:19]
	s_andn2_b64 exec, exec, s[18:19]
	s_cbranch_execnz .LBB4_793
; %bb.794:                              ;   in Loop: Header=BB4_3 Depth=1
	s_or_b64 exec, exec, s[18:19]
.LBB4_795:                              ;   in Loop: Header=BB4_3 Depth=1
	s_or_b64 exec, exec, s[16:17]
.LBB4_796:                              ;   in Loop: Header=BB4_3 Depth=1
	s_or_b64 exec, exec, s[14:15]
	global_load_dwordx2 v[7:8], v2, s[2:3] offset:40
	global_load_dwordx4 v[10:13], v2, s[2:3]
	v_readfirstlane_b32 s15, v4
	v_readfirstlane_b32 s14, v3
	s_mov_b64 s[16:17], exec
	s_waitcnt vmcnt(1)
	v_readfirstlane_b32 s18, v7
	v_readfirstlane_b32 s19, v8
	s_and_b64 s[18:19], s[18:19], s[14:15]
	s_mul_i32 s20, s19, 24
	s_mul_hi_u32 s21, s18, 24
	s_mul_i32 s22, s18, 24
	s_add_i32 s20, s21, s20
	v_mov_b32_e32 v1, s20
	s_waitcnt vmcnt(0)
	v_add_co_u32_e32 v7, vcc, s22, v10
	v_addc_co_u32_e32 v8, vcc, v11, v1, vcc
	s_and_saveexec_b64 s[20:21], s[0:1]
	s_cbranch_execz .LBB4_798
; %bb.797:                              ;   in Loop: Header=BB4_3 Depth=1
	v_mov_b32_e32 v3, s16
	v_mov_b32_e32 v4, s17
	global_store_dwordx4 v[7:8], v[3:6], off offset:8
.LBB4_798:                              ;   in Loop: Header=BB4_3 Depth=1
	s_or_b64 exec, exec, s[20:21]
	s_lshl_b64 s[16:17], s[18:19], 12
	v_mov_b32_e32 v1, s17
	v_add_co_u32_e32 v19, vcc, s16, v12
	v_addc_co_u32_e32 v20, vcc, v13, v1, vcc
	v_and_or_b32 v15, v15, s29, 32
	v_mov_b32_e32 v17, v2
	v_mov_b32_e32 v18, v2
	v_readfirstlane_b32 s16, v19
	v_readfirstlane_b32 s17, v20
	s_nop 4
	global_store_dwordx4 v43, v[15:18], s[16:17]
	s_nop 0
	v_mov_b32_e32 v18, s11
	v_mov_b32_e32 v17, s10
	;; [unrolled: 1-line block ×4, first 2 shown]
	global_store_dwordx4 v43, v[15:18], s[16:17] offset:16
	global_store_dwordx4 v43, v[15:18], s[16:17] offset:32
	;; [unrolled: 1-line block ×3, first 2 shown]
	s_and_saveexec_b64 s[16:17], s[0:1]
	s_cbranch_execz .LBB4_806
; %bb.799:                              ;   in Loop: Header=BB4_3 Depth=1
	global_load_dwordx2 v[17:18], v2, s[2:3] offset:32 glc
	global_load_dwordx2 v[3:4], v2, s[2:3] offset:40
	v_mov_b32_e32 v15, s14
	v_mov_b32_e32 v16, s15
	s_waitcnt vmcnt(0)
	v_readfirstlane_b32 s18, v3
	v_readfirstlane_b32 s19, v4
	s_and_b64 s[18:19], s[18:19], s[14:15]
	s_mul_i32 s19, s19, 24
	s_mul_hi_u32 s20, s18, 24
	s_mul_i32 s18, s18, 24
	s_add_i32 s19, s20, s19
	v_mov_b32_e32 v1, s19
	v_add_co_u32_e32 v3, vcc, s18, v10
	v_addc_co_u32_e32 v4, vcc, v11, v1, vcc
	global_store_dwordx2 v[3:4], v[17:18], off
	s_waitcnt vmcnt(0)
	global_atomic_cmpswap_x2 v[12:13], v2, v[15:18], s[2:3] offset:32 glc
	s_waitcnt vmcnt(0)
	v_cmp_ne_u64_e32 vcc, v[12:13], v[17:18]
	s_and_saveexec_b64 s[18:19], vcc
	s_cbranch_execz .LBB4_802
; %bb.800:                              ;   in Loop: Header=BB4_3 Depth=1
	s_mov_b64 s[20:21], 0
.LBB4_801:                              ;   Parent Loop BB4_3 Depth=1
                                        ; =>  This Inner Loop Header: Depth=2
	s_sleep 1
	global_store_dwordx2 v[3:4], v[12:13], off
	v_mov_b32_e32 v10, s14
	v_mov_b32_e32 v11, s15
	s_waitcnt vmcnt(0)
	global_atomic_cmpswap_x2 v[10:11], v2, v[10:13], s[2:3] offset:32 glc
	s_waitcnt vmcnt(0)
	v_cmp_eq_u64_e32 vcc, v[10:11], v[12:13]
	v_mov_b32_e32 v13, v11
	s_or_b64 s[20:21], vcc, s[20:21]
	v_mov_b32_e32 v12, v10
	s_andn2_b64 exec, exec, s[20:21]
	s_cbranch_execnz .LBB4_801
.LBB4_802:                              ;   in Loop: Header=BB4_3 Depth=1
	s_or_b64 exec, exec, s[18:19]
	global_load_dwordx2 v[3:4], v2, s[2:3] offset:16
	s_mov_b64 s[20:21], exec
	v_mbcnt_lo_u32_b32 v1, s20, 0
	v_mbcnt_hi_u32_b32 v1, s21, v1
	v_cmp_eq_u32_e32 vcc, 0, v1
	s_and_saveexec_b64 s[18:19], vcc
	s_cbranch_execz .LBB4_804
; %bb.803:                              ;   in Loop: Header=BB4_3 Depth=1
	s_bcnt1_i32_b64 s20, s[20:21]
	v_mov_b32_e32 v1, s20
	s_waitcnt vmcnt(0)
	global_atomic_add_x2 v[3:4], v[1:2], off offset:8
.LBB4_804:                              ;   in Loop: Header=BB4_3 Depth=1
	s_or_b64 exec, exec, s[18:19]
	s_waitcnt vmcnt(0)
	global_load_dwordx2 v[10:11], v[3:4], off offset:16
	s_waitcnt vmcnt(0)
	v_cmp_eq_u64_e32 vcc, 0, v[10:11]
	s_cbranch_vccnz .LBB4_806
; %bb.805:                              ;   in Loop: Header=BB4_3 Depth=1
	global_load_dword v1, v[3:4], off offset:24
	s_waitcnt vmcnt(0)
	v_readfirstlane_b32 s18, v1
	s_and_b32 m0, s18, 0xffffff
	global_store_dwordx2 v[10:11], v[1:2], off
	s_sendmsg sendmsg(MSG_INTERRUPT)
.LBB4_806:                              ;   in Loop: Header=BB4_3 Depth=1
	s_or_b64 exec, exec, s[16:17]
	v_add_co_u32_e32 v3, vcc, v19, v43
	v_addc_co_u32_e32 v4, vcc, 0, v20, vcc
	s_branch .LBB4_810
.LBB4_807:                              ;   in Loop: Header=BB4_810 Depth=2
	s_or_b64 exec, exec, s[16:17]
	v_readfirstlane_b32 s16, v1
	s_cmp_eq_u32 s16, 0
	s_cbranch_scc1 .LBB4_809
; %bb.808:                              ;   in Loop: Header=BB4_810 Depth=2
	s_sleep 1
	s_cbranch_execnz .LBB4_810
	s_branch .LBB4_812
.LBB4_809:                              ;   in Loop: Header=BB4_3 Depth=1
	s_branch .LBB4_812
.LBB4_810:                              ;   Parent Loop BB4_3 Depth=1
                                        ; =>  This Inner Loop Header: Depth=2
	v_mov_b32_e32 v1, 1
	s_and_saveexec_b64 s[16:17], s[0:1]
	s_cbranch_execz .LBB4_807
; %bb.811:                              ;   in Loop: Header=BB4_810 Depth=2
	global_load_dword v1, v[7:8], off offset:20 glc
	s_waitcnt vmcnt(0)
	buffer_wbinvl1_vol
	v_and_b32_e32 v1, 1, v1
	s_branch .LBB4_807
.LBB4_812:                              ;   in Loop: Header=BB4_3 Depth=1
	global_load_dwordx2 v[10:11], v[3:4], off
	s_and_saveexec_b64 s[16:17], s[0:1]
	s_cbranch_execz .LBB4_816
; %bb.813:                              ;   in Loop: Header=BB4_3 Depth=1
	global_load_dwordx2 v[3:4], v2, s[2:3] offset:40
	global_load_dwordx2 v[19:20], v2, s[2:3] offset:24 glc
	global_load_dwordx2 v[7:8], v2, s[2:3]
	s_waitcnt vmcnt(2)
	v_readfirstlane_b32 s18, v3
	v_readfirstlane_b32 s19, v4
	s_add_u32 s20, s18, 1
	s_addc_u32 s21, s19, 0
	s_add_u32 s0, s20, s14
	s_addc_u32 s1, s21, s15
	s_cmp_eq_u64 s[0:1], 0
	s_cselect_b32 s1, s21, s1
	s_cselect_b32 s0, s20, s0
	s_and_b64 s[14:15], s[0:1], s[18:19]
	s_mul_i32 s15, s15, 24
	s_mul_hi_u32 s18, s14, 24
	s_mul_i32 s14, s14, 24
	s_add_i32 s15, s18, s15
	v_mov_b32_e32 v1, s15
	s_waitcnt vmcnt(0)
	v_add_co_u32_e32 v3, vcc, s14, v7
	v_addc_co_u32_e32 v4, vcc, v8, v1, vcc
	v_mov_b32_e32 v17, s0
	global_store_dwordx2 v[3:4], v[19:20], off
	v_mov_b32_e32 v18, s1
	s_waitcnt vmcnt(0)
	global_atomic_cmpswap_x2 v[17:18], v2, v[17:20], s[2:3] offset:24 glc
	s_waitcnt vmcnt(0)
	v_cmp_ne_u64_e32 vcc, v[17:18], v[19:20]
	s_and_b64 exec, exec, vcc
	s_cbranch_execz .LBB4_816
; %bb.814:                              ;   in Loop: Header=BB4_3 Depth=1
	s_mov_b64 s[14:15], 0
.LBB4_815:                              ;   Parent Loop BB4_3 Depth=1
                                        ; =>  This Inner Loop Header: Depth=2
	s_sleep 1
	global_store_dwordx2 v[3:4], v[17:18], off
	v_mov_b32_e32 v15, s0
	v_mov_b32_e32 v16, s1
	s_waitcnt vmcnt(0)
	global_atomic_cmpswap_x2 v[7:8], v2, v[15:18], s[2:3] offset:24 glc
	s_waitcnt vmcnt(0)
	v_cmp_eq_u64_e32 vcc, v[7:8], v[17:18]
	v_mov_b32_e32 v18, v8
	s_or_b64 s[14:15], vcc, s[14:15]
	v_mov_b32_e32 v17, v7
	s_andn2_b64 exec, exec, s[14:15]
	s_cbranch_execnz .LBB4_815
.LBB4_816:                              ;   in Loop: Header=BB4_3 Depth=1
	s_or_b64 exec, exec, s[16:17]
.LBB4_817:                              ;   in Loop: Header=BB4_3 Depth=1
	v_readfirstlane_b32 s0, v40
	v_mov_b32_e32 v3, 0
	v_mov_b32_e32 v4, 0
	v_cmp_eq_u32_e64 s[0:1], s0, v40
	s_and_saveexec_b64 s[14:15], s[0:1]
	s_cbranch_execz .LBB4_823
; %bb.818:                              ;   in Loop: Header=BB4_3 Depth=1
	global_load_dwordx2 v[17:18], v2, s[2:3] offset:24 glc
	s_waitcnt vmcnt(0)
	buffer_wbinvl1_vol
	global_load_dwordx2 v[3:4], v2, s[2:3] offset:40
	global_load_dwordx2 v[7:8], v2, s[2:3]
	s_waitcnt vmcnt(1)
	v_and_b32_e32 v1, v3, v17
	v_and_b32_e32 v3, v4, v18
	v_mul_lo_u32 v3, v3, 24
	v_mul_hi_u32 v4, v1, 24
	v_mul_lo_u32 v1, v1, 24
	v_add_u32_e32 v4, v4, v3
	s_waitcnt vmcnt(0)
	v_add_co_u32_e32 v3, vcc, v7, v1
	v_addc_co_u32_e32 v4, vcc, v8, v4, vcc
	global_load_dwordx2 v[15:16], v[3:4], off glc
	s_waitcnt vmcnt(0)
	global_atomic_cmpswap_x2 v[3:4], v2, v[15:18], s[2:3] offset:24 glc
	s_waitcnt vmcnt(0)
	buffer_wbinvl1_vol
	v_cmp_ne_u64_e32 vcc, v[3:4], v[17:18]
	s_and_saveexec_b64 s[16:17], vcc
	s_cbranch_execz .LBB4_822
; %bb.819:                              ;   in Loop: Header=BB4_3 Depth=1
	s_mov_b64 s[18:19], 0
.LBB4_820:                              ;   Parent Loop BB4_3 Depth=1
                                        ; =>  This Inner Loop Header: Depth=2
	s_sleep 1
	global_load_dwordx2 v[7:8], v2, s[2:3] offset:40
	global_load_dwordx2 v[12:13], v2, s[2:3]
	v_mov_b32_e32 v18, v4
	v_mov_b32_e32 v17, v3
	s_waitcnt vmcnt(1)
	v_and_b32_e32 v1, v7, v17
	s_waitcnt vmcnt(0)
	v_mad_u64_u32 v[3:4], s[20:21], v1, 24, v[12:13]
	v_and_b32_e32 v7, v8, v18
	v_mov_b32_e32 v1, v4
	v_mad_u64_u32 v[7:8], s[20:21], v7, 24, v[1:2]
	v_mov_b32_e32 v4, v7
	global_load_dwordx2 v[15:16], v[3:4], off glc
	s_waitcnt vmcnt(0)
	global_atomic_cmpswap_x2 v[3:4], v2, v[15:18], s[2:3] offset:24 glc
	s_waitcnt vmcnt(0)
	buffer_wbinvl1_vol
	v_cmp_eq_u64_e32 vcc, v[3:4], v[17:18]
	s_or_b64 s[18:19], vcc, s[18:19]
	s_andn2_b64 exec, exec, s[18:19]
	s_cbranch_execnz .LBB4_820
; %bb.821:                              ;   in Loop: Header=BB4_3 Depth=1
	s_or_b64 exec, exec, s[18:19]
.LBB4_822:                              ;   in Loop: Header=BB4_3 Depth=1
	s_or_b64 exec, exec, s[16:17]
.LBB4_823:                              ;   in Loop: Header=BB4_3 Depth=1
	s_or_b64 exec, exec, s[14:15]
	global_load_dwordx2 v[7:8], v2, s[2:3] offset:40
	global_load_dwordx4 v[15:18], v2, s[2:3]
	v_readfirstlane_b32 s15, v4
	v_readfirstlane_b32 s14, v3
	s_mov_b64 s[16:17], exec
	s_waitcnt vmcnt(1)
	v_readfirstlane_b32 s18, v7
	v_readfirstlane_b32 s19, v8
	s_and_b64 s[18:19], s[18:19], s[14:15]
	s_mul_i32 s20, s19, 24
	s_mul_hi_u32 s21, s18, 24
	s_mul_i32 s22, s18, 24
	s_add_i32 s20, s21, s20
	v_mov_b32_e32 v1, s20
	s_waitcnt vmcnt(0)
	v_add_co_u32_e32 v19, vcc, s22, v15
	v_addc_co_u32_e32 v20, vcc, v16, v1, vcc
	s_and_saveexec_b64 s[20:21], s[0:1]
	s_cbranch_execz .LBB4_825
; %bb.824:                              ;   in Loop: Header=BB4_3 Depth=1
	v_mov_b32_e32 v3, s16
	v_mov_b32_e32 v4, s17
	global_store_dwordx4 v[19:20], v[3:6], off offset:8
.LBB4_825:                              ;   in Loop: Header=BB4_3 Depth=1
	s_or_b64 exec, exec, s[20:21]
	s_lshl_b64 s[16:17], s[18:19], 12
	v_mul_lo_u32 v12, v14, v9
	v_mov_b32_e32 v1, s17
	v_add_co_u32_e32 v17, vcc, s16, v17
	v_addc_co_u32_e32 v18, vcc, v18, v1, vcc
	v_and_or_b32 v10, v10, s30, 34
	v_mov_b32_e32 v13, v2
	v_readfirstlane_b32 s16, v17
	v_readfirstlane_b32 s17, v18
	s_nop 4
	global_store_dwordx4 v43, v[10:13], s[16:17]
	v_mov_b32_e32 v7, s8
	v_mov_b32_e32 v8, s9
	;; [unrolled: 1-line block ×4, first 2 shown]
	global_store_dwordx4 v43, v[7:10], s[16:17] offset:16
	global_store_dwordx4 v43, v[7:10], s[16:17] offset:32
	;; [unrolled: 1-line block ×3, first 2 shown]
	s_and_saveexec_b64 s[16:17], s[0:1]
	s_cbranch_execz .LBB4_833
; %bb.826:                              ;   in Loop: Header=BB4_3 Depth=1
	global_load_dwordx2 v[23:24], v2, s[2:3] offset:32 glc
	global_load_dwordx2 v[3:4], v2, s[2:3] offset:40
	v_mov_b32_e32 v21, s14
	v_mov_b32_e32 v22, s15
	s_waitcnt vmcnt(0)
	v_readfirstlane_b32 s18, v3
	v_readfirstlane_b32 s19, v4
	s_and_b64 s[18:19], s[18:19], s[14:15]
	s_mul_i32 s19, s19, 24
	s_mul_hi_u32 s20, s18, 24
	s_mul_i32 s18, s18, 24
	s_add_i32 s19, s20, s19
	v_mov_b32_e32 v1, s19
	v_add_co_u32_e32 v3, vcc, s18, v15
	v_addc_co_u32_e32 v4, vcc, v16, v1, vcc
	global_store_dwordx2 v[3:4], v[23:24], off
	s_waitcnt vmcnt(0)
	global_atomic_cmpswap_x2 v[9:10], v2, v[21:24], s[2:3] offset:32 glc
	s_waitcnt vmcnt(0)
	v_cmp_ne_u64_e32 vcc, v[9:10], v[23:24]
	s_and_saveexec_b64 s[18:19], vcc
	s_cbranch_execz .LBB4_829
; %bb.827:                              ;   in Loop: Header=BB4_3 Depth=1
	s_mov_b64 s[20:21], 0
.LBB4_828:                              ;   Parent Loop BB4_3 Depth=1
                                        ; =>  This Inner Loop Header: Depth=2
	s_sleep 1
	global_store_dwordx2 v[3:4], v[9:10], off
	v_mov_b32_e32 v7, s14
	v_mov_b32_e32 v8, s15
	s_waitcnt vmcnt(0)
	global_atomic_cmpswap_x2 v[7:8], v2, v[7:10], s[2:3] offset:32 glc
	s_waitcnt vmcnt(0)
	v_cmp_eq_u64_e32 vcc, v[7:8], v[9:10]
	v_mov_b32_e32 v10, v8
	s_or_b64 s[20:21], vcc, s[20:21]
	v_mov_b32_e32 v9, v7
	s_andn2_b64 exec, exec, s[20:21]
	s_cbranch_execnz .LBB4_828
.LBB4_829:                              ;   in Loop: Header=BB4_3 Depth=1
	s_or_b64 exec, exec, s[18:19]
	global_load_dwordx2 v[3:4], v2, s[2:3] offset:16
	s_mov_b64 s[20:21], exec
	v_mbcnt_lo_u32_b32 v1, s20, 0
	v_mbcnt_hi_u32_b32 v1, s21, v1
	v_cmp_eq_u32_e32 vcc, 0, v1
	s_and_saveexec_b64 s[18:19], vcc
	s_cbranch_execz .LBB4_831
; %bb.830:                              ;   in Loop: Header=BB4_3 Depth=1
	s_bcnt1_i32_b64 s20, s[20:21]
	v_mov_b32_e32 v1, s20
	s_waitcnt vmcnt(0)
	global_atomic_add_x2 v[3:4], v[1:2], off offset:8
.LBB4_831:                              ;   in Loop: Header=BB4_3 Depth=1
	s_or_b64 exec, exec, s[18:19]
	s_waitcnt vmcnt(0)
	global_load_dwordx2 v[7:8], v[3:4], off offset:16
	s_waitcnt vmcnt(0)
	v_cmp_eq_u64_e32 vcc, 0, v[7:8]
	s_cbranch_vccnz .LBB4_833
; %bb.832:                              ;   in Loop: Header=BB4_3 Depth=1
	global_load_dword v1, v[3:4], off offset:24
	s_waitcnt vmcnt(0)
	v_readfirstlane_b32 s18, v1
	s_and_b32 m0, s18, 0xffffff
	global_store_dwordx2 v[7:8], v[1:2], off
	s_sendmsg sendmsg(MSG_INTERRUPT)
.LBB4_833:                              ;   in Loop: Header=BB4_3 Depth=1
	s_or_b64 exec, exec, s[16:17]
	v_add_co_u32_e32 v3, vcc, v17, v43
	v_addc_co_u32_e32 v4, vcc, 0, v18, vcc
	s_branch .LBB4_837
.LBB4_834:                              ;   in Loop: Header=BB4_837 Depth=2
	s_or_b64 exec, exec, s[16:17]
	v_readfirstlane_b32 s16, v1
	s_cmp_eq_u32 s16, 0
	s_cbranch_scc1 .LBB4_836
; %bb.835:                              ;   in Loop: Header=BB4_837 Depth=2
	s_sleep 1
	s_cbranch_execnz .LBB4_837
	s_branch .LBB4_839
.LBB4_836:                              ;   in Loop: Header=BB4_3 Depth=1
	s_branch .LBB4_839
.LBB4_837:                              ;   Parent Loop BB4_3 Depth=1
                                        ; =>  This Inner Loop Header: Depth=2
	v_mov_b32_e32 v1, 1
	s_and_saveexec_b64 s[16:17], s[0:1]
	s_cbranch_execz .LBB4_834
; %bb.838:                              ;   in Loop: Header=BB4_837 Depth=2
	global_load_dword v1, v[19:20], off offset:20 glc
	s_waitcnt vmcnt(0)
	buffer_wbinvl1_vol
	v_and_b32_e32 v1, 1, v1
	s_branch .LBB4_834
.LBB4_839:                              ;   in Loop: Header=BB4_3 Depth=1
	global_load_dwordx2 v[33:34], v[3:4], off
	s_and_saveexec_b64 s[16:17], s[0:1]
	s_cbranch_execz .LBB4_843
; %bb.840:                              ;   in Loop: Header=BB4_3 Depth=1
	global_load_dwordx2 v[3:4], v2, s[2:3] offset:40
	global_load_dwordx2 v[15:16], v2, s[2:3] offset:24 glc
	global_load_dwordx2 v[7:8], v2, s[2:3]
	s_waitcnt vmcnt(2)
	v_readfirstlane_b32 s18, v3
	v_readfirstlane_b32 s19, v4
	s_add_u32 s20, s18, 1
	s_addc_u32 s21, s19, 0
	s_add_u32 s0, s20, s14
	s_addc_u32 s1, s21, s15
	s_cmp_eq_u64 s[0:1], 0
	s_cselect_b32 s1, s21, s1
	s_cselect_b32 s0, s20, s0
	s_and_b64 s[14:15], s[0:1], s[18:19]
	s_mul_i32 s15, s15, 24
	s_mul_hi_u32 s18, s14, 24
	s_mul_i32 s14, s14, 24
	s_add_i32 s15, s18, s15
	v_mov_b32_e32 v1, s15
	s_waitcnt vmcnt(0)
	v_add_co_u32_e32 v3, vcc, s14, v7
	v_addc_co_u32_e32 v4, vcc, v8, v1, vcc
	v_mov_b32_e32 v13, s0
	global_store_dwordx2 v[3:4], v[15:16], off
	v_mov_b32_e32 v14, s1
	s_waitcnt vmcnt(0)
	global_atomic_cmpswap_x2 v[9:10], v2, v[13:16], s[2:3] offset:24 glc
	s_waitcnt vmcnt(0)
	v_cmp_ne_u64_e32 vcc, v[9:10], v[15:16]
	s_and_b64 exec, exec, vcc
	s_cbranch_execz .LBB4_843
; %bb.841:                              ;   in Loop: Header=BB4_3 Depth=1
	s_mov_b64 s[14:15], 0
.LBB4_842:                              ;   Parent Loop BB4_3 Depth=1
                                        ; =>  This Inner Loop Header: Depth=2
	s_sleep 1
	global_store_dwordx2 v[3:4], v[9:10], off
	v_mov_b32_e32 v7, s0
	v_mov_b32_e32 v8, s1
	s_waitcnt vmcnt(0)
	global_atomic_cmpswap_x2 v[7:8], v2, v[7:10], s[2:3] offset:24 glc
	s_waitcnt vmcnt(0)
	v_cmp_eq_u64_e32 vcc, v[7:8], v[9:10]
	v_mov_b32_e32 v10, v8
	s_or_b64 s[14:15], vcc, s[14:15]
	v_mov_b32_e32 v9, v7
	s_andn2_b64 exec, exec, s[14:15]
	s_cbranch_execnz .LBB4_842
.LBB4_843:                              ;   in Loop: Header=BB4_3 Depth=1
	s_or_b64 exec, exec, s[16:17]
	v_readfirstlane_b32 s0, v40
	v_mov_b32_e32 v3, 0
	v_mov_b32_e32 v4, 0
	v_cmp_eq_u32_e64 s[0:1], s0, v40
	s_and_saveexec_b64 s[14:15], s[0:1]
	s_cbranch_execz .LBB4_849
; %bb.844:                              ;   in Loop: Header=BB4_3 Depth=1
	global_load_dwordx2 v[9:10], v2, s[2:3] offset:24 glc
	s_waitcnt vmcnt(0)
	buffer_wbinvl1_vol
	global_load_dwordx2 v[3:4], v2, s[2:3] offset:40
	global_load_dwordx2 v[7:8], v2, s[2:3]
	s_waitcnt vmcnt(1)
	v_and_b32_e32 v1, v3, v9
	v_and_b32_e32 v3, v4, v10
	v_mul_lo_u32 v3, v3, 24
	v_mul_hi_u32 v4, v1, 24
	v_mul_lo_u32 v1, v1, 24
	v_add_u32_e32 v4, v4, v3
	s_waitcnt vmcnt(0)
	v_add_co_u32_e32 v3, vcc, v7, v1
	v_addc_co_u32_e32 v4, vcc, v8, v4, vcc
	global_load_dwordx2 v[7:8], v[3:4], off glc
	s_waitcnt vmcnt(0)
	global_atomic_cmpswap_x2 v[3:4], v2, v[7:10], s[2:3] offset:24 glc
	s_waitcnt vmcnt(0)
	buffer_wbinvl1_vol
	v_cmp_ne_u64_e32 vcc, v[3:4], v[9:10]
	s_and_saveexec_b64 s[16:17], vcc
	s_cbranch_execz .LBB4_848
; %bb.845:                              ;   in Loop: Header=BB4_3 Depth=1
	s_mov_b64 s[18:19], 0
.LBB4_846:                              ;   Parent Loop BB4_3 Depth=1
                                        ; =>  This Inner Loop Header: Depth=2
	s_sleep 1
	global_load_dwordx2 v[7:8], v2, s[2:3] offset:40
	global_load_dwordx2 v[13:14], v2, s[2:3]
	v_mov_b32_e32 v10, v4
	v_mov_b32_e32 v9, v3
	s_waitcnt vmcnt(1)
	v_and_b32_e32 v1, v7, v9
	s_waitcnt vmcnt(0)
	v_mad_u64_u32 v[3:4], s[20:21], v1, 24, v[13:14]
	v_and_b32_e32 v7, v8, v10
	v_mov_b32_e32 v1, v4
	v_mad_u64_u32 v[7:8], s[20:21], v7, 24, v[1:2]
	v_mov_b32_e32 v4, v7
	global_load_dwordx2 v[7:8], v[3:4], off glc
	s_waitcnt vmcnt(0)
	global_atomic_cmpswap_x2 v[3:4], v2, v[7:10], s[2:3] offset:24 glc
	s_waitcnt vmcnt(0)
	buffer_wbinvl1_vol
	v_cmp_eq_u64_e32 vcc, v[3:4], v[9:10]
	s_or_b64 s[18:19], vcc, s[18:19]
	s_andn2_b64 exec, exec, s[18:19]
	s_cbranch_execnz .LBB4_846
; %bb.847:                              ;   in Loop: Header=BB4_3 Depth=1
	s_or_b64 exec, exec, s[18:19]
.LBB4_848:                              ;   in Loop: Header=BB4_3 Depth=1
	s_or_b64 exec, exec, s[16:17]
.LBB4_849:                              ;   in Loop: Header=BB4_3 Depth=1
	s_or_b64 exec, exec, s[14:15]
	global_load_dwordx2 v[13:14], v2, s[2:3] offset:40
	global_load_dwordx4 v[7:10], v2, s[2:3]
	v_readfirstlane_b32 s15, v4
	v_readfirstlane_b32 s14, v3
	s_mov_b64 s[16:17], exec
	s_waitcnt vmcnt(1)
	v_readfirstlane_b32 s18, v13
	v_readfirstlane_b32 s19, v14
	s_and_b64 s[18:19], s[18:19], s[14:15]
	s_mul_i32 s20, s19, 24
	s_mul_hi_u32 s21, s18, 24
	s_mul_i32 s22, s18, 24
	s_add_i32 s20, s21, s20
	v_mov_b32_e32 v1, s20
	s_waitcnt vmcnt(0)
	v_add_co_u32_e32 v13, vcc, s22, v7
	v_addc_co_u32_e32 v14, vcc, v8, v1, vcc
	s_and_saveexec_b64 s[20:21], s[0:1]
	s_cbranch_execz .LBB4_851
; %bb.850:                              ;   in Loop: Header=BB4_3 Depth=1
	v_mov_b32_e32 v3, s16
	v_mov_b32_e32 v4, s17
	global_store_dwordx4 v[13:14], v[3:6], off offset:8
.LBB4_851:                              ;   in Loop: Header=BB4_3 Depth=1
	s_or_b64 exec, exec, s[20:21]
	s_lshl_b64 s[16:17], s[18:19], 12
	v_mov_b32_e32 v1, s17
	v_add_co_u32_e32 v11, vcc, s16, v9
	v_addc_co_u32_e32 v15, vcc, v10, v1, vcc
	v_mov_b32_e32 v19, s11
	v_mov_b32_e32 v1, v2
	v_mov_b32_e32 v3, v2
	v_readfirstlane_b32 s16, v11
	v_readfirstlane_b32 s17, v15
	v_mov_b32_e32 v18, s10
	v_mov_b32_e32 v17, s9
	;; [unrolled: 1-line block ×3, first 2 shown]
	s_nop 1
	global_store_dwordx4 v43, v[0:3], s[16:17]
	global_store_dwordx4 v43, v[16:19], s[16:17] offset:16
	global_store_dwordx4 v43, v[16:19], s[16:17] offset:32
	;; [unrolled: 1-line block ×3, first 2 shown]
	s_and_saveexec_b64 s[16:17], s[0:1]
	s_cbranch_execz .LBB4_859
; %bb.852:                              ;   in Loop: Header=BB4_3 Depth=1
	global_load_dwordx2 v[18:19], v2, s[2:3] offset:32 glc
	global_load_dwordx2 v[3:4], v2, s[2:3] offset:40
	v_mov_b32_e32 v16, s14
	v_mov_b32_e32 v17, s15
	s_waitcnt vmcnt(0)
	v_readfirstlane_b32 s18, v3
	v_readfirstlane_b32 s19, v4
	s_and_b64 s[18:19], s[18:19], s[14:15]
	s_mul_i32 s19, s19, 24
	s_mul_hi_u32 s20, s18, 24
	s_mul_i32 s18, s18, 24
	s_add_i32 s19, s20, s19
	v_mov_b32_e32 v1, s19
	v_add_co_u32_e32 v3, vcc, s18, v7
	v_addc_co_u32_e32 v4, vcc, v8, v1, vcc
	global_store_dwordx2 v[3:4], v[18:19], off
	s_waitcnt vmcnt(0)
	global_atomic_cmpswap_x2 v[9:10], v2, v[16:19], s[2:3] offset:32 glc
	s_waitcnt vmcnt(0)
	v_cmp_ne_u64_e32 vcc, v[9:10], v[18:19]
	s_and_saveexec_b64 s[18:19], vcc
	s_cbranch_execz .LBB4_855
; %bb.853:                              ;   in Loop: Header=BB4_3 Depth=1
	s_mov_b64 s[20:21], 0
.LBB4_854:                              ;   Parent Loop BB4_3 Depth=1
                                        ; =>  This Inner Loop Header: Depth=2
	s_sleep 1
	global_store_dwordx2 v[3:4], v[9:10], off
	v_mov_b32_e32 v7, s14
	v_mov_b32_e32 v8, s15
	s_waitcnt vmcnt(0)
	global_atomic_cmpswap_x2 v[7:8], v2, v[7:10], s[2:3] offset:32 glc
	s_waitcnt vmcnt(0)
	v_cmp_eq_u64_e32 vcc, v[7:8], v[9:10]
	v_mov_b32_e32 v10, v8
	s_or_b64 s[20:21], vcc, s[20:21]
	v_mov_b32_e32 v9, v7
	s_andn2_b64 exec, exec, s[20:21]
	s_cbranch_execnz .LBB4_854
.LBB4_855:                              ;   in Loop: Header=BB4_3 Depth=1
	s_or_b64 exec, exec, s[18:19]
	global_load_dwordx2 v[3:4], v2, s[2:3] offset:16
	s_mov_b64 s[20:21], exec
	v_mbcnt_lo_u32_b32 v1, s20, 0
	v_mbcnt_hi_u32_b32 v1, s21, v1
	v_cmp_eq_u32_e32 vcc, 0, v1
	s_and_saveexec_b64 s[18:19], vcc
	s_cbranch_execz .LBB4_857
; %bb.856:                              ;   in Loop: Header=BB4_3 Depth=1
	s_bcnt1_i32_b64 s20, s[20:21]
	v_mov_b32_e32 v1, s20
	s_waitcnt vmcnt(0)
	global_atomic_add_x2 v[3:4], v[1:2], off offset:8
.LBB4_857:                              ;   in Loop: Header=BB4_3 Depth=1
	s_or_b64 exec, exec, s[18:19]
	s_waitcnt vmcnt(0)
	global_load_dwordx2 v[7:8], v[3:4], off offset:16
	s_waitcnt vmcnt(0)
	v_cmp_eq_u64_e32 vcc, 0, v[7:8]
	s_cbranch_vccnz .LBB4_859
; %bb.858:                              ;   in Loop: Header=BB4_3 Depth=1
	global_load_dword v1, v[3:4], off offset:24
	s_waitcnt vmcnt(0)
	v_readfirstlane_b32 s18, v1
	s_and_b32 m0, s18, 0xffffff
	global_store_dwordx2 v[7:8], v[1:2], off
	s_sendmsg sendmsg(MSG_INTERRUPT)
.LBB4_859:                              ;   in Loop: Header=BB4_3 Depth=1
	s_or_b64 exec, exec, s[16:17]
	v_add_co_u32_e32 v3, vcc, v11, v43
	v_addc_co_u32_e32 v4, vcc, 0, v15, vcc
	s_branch .LBB4_863
.LBB4_860:                              ;   in Loop: Header=BB4_863 Depth=2
	s_or_b64 exec, exec, s[16:17]
	v_readfirstlane_b32 s16, v1
	s_cmp_eq_u32 s16, 0
	s_cbranch_scc1 .LBB4_862
; %bb.861:                              ;   in Loop: Header=BB4_863 Depth=2
	s_sleep 1
	s_cbranch_execnz .LBB4_863
	s_branch .LBB4_865
.LBB4_862:                              ;   in Loop: Header=BB4_3 Depth=1
	s_branch .LBB4_865
.LBB4_863:                              ;   Parent Loop BB4_3 Depth=1
                                        ; =>  This Inner Loop Header: Depth=2
	v_mov_b32_e32 v1, 1
	s_and_saveexec_b64 s[16:17], s[0:1]
	s_cbranch_execz .LBB4_860
; %bb.864:                              ;   in Loop: Header=BB4_863 Depth=2
	global_load_dword v1, v[13:14], off offset:20 glc
	s_waitcnt vmcnt(0)
	buffer_wbinvl1_vol
	v_and_b32_e32 v1, 1, v1
	s_branch .LBB4_860
.LBB4_865:                              ;   in Loop: Header=BB4_3 Depth=1
	global_load_dwordx2 v[13:14], v[3:4], off
	s_and_saveexec_b64 s[16:17], s[0:1]
	s_cbranch_execz .LBB4_869
; %bb.866:                              ;   in Loop: Header=BB4_3 Depth=1
	global_load_dwordx2 v[3:4], v2, s[2:3] offset:40
	global_load_dwordx2 v[17:18], v2, s[2:3] offset:24 glc
	global_load_dwordx2 v[7:8], v2, s[2:3]
	s_waitcnt vmcnt(2)
	v_readfirstlane_b32 s18, v3
	v_readfirstlane_b32 s19, v4
	s_add_u32 s20, s18, 1
	s_addc_u32 s21, s19, 0
	s_add_u32 s0, s20, s14
	s_addc_u32 s1, s21, s15
	s_cmp_eq_u64 s[0:1], 0
	s_cselect_b32 s1, s21, s1
	s_cselect_b32 s0, s20, s0
	s_and_b64 s[14:15], s[0:1], s[18:19]
	s_mul_i32 s15, s15, 24
	s_mul_hi_u32 s18, s14, 24
	s_mul_i32 s14, s14, 24
	s_add_i32 s15, s18, s15
	v_mov_b32_e32 v1, s15
	s_waitcnt vmcnt(0)
	v_add_co_u32_e32 v3, vcc, s14, v7
	v_addc_co_u32_e32 v4, vcc, v8, v1, vcc
	v_mov_b32_e32 v15, s0
	global_store_dwordx2 v[3:4], v[17:18], off
	v_mov_b32_e32 v16, s1
	s_waitcnt vmcnt(0)
	global_atomic_cmpswap_x2 v[9:10], v2, v[15:18], s[2:3] offset:24 glc
	s_waitcnt vmcnt(0)
	v_cmp_ne_u64_e32 vcc, v[9:10], v[17:18]
	s_and_b64 exec, exec, vcc
	s_cbranch_execz .LBB4_869
; %bb.867:                              ;   in Loop: Header=BB4_3 Depth=1
	s_mov_b64 s[14:15], 0
.LBB4_868:                              ;   Parent Loop BB4_3 Depth=1
                                        ; =>  This Inner Loop Header: Depth=2
	s_sleep 1
	global_store_dwordx2 v[3:4], v[9:10], off
	v_mov_b32_e32 v7, s0
	v_mov_b32_e32 v8, s1
	s_waitcnt vmcnt(0)
	global_atomic_cmpswap_x2 v[7:8], v2, v[7:10], s[2:3] offset:24 glc
	s_waitcnt vmcnt(0)
	v_cmp_eq_u64_e32 vcc, v[7:8], v[9:10]
	v_mov_b32_e32 v10, v8
	s_or_b64 s[14:15], vcc, s[14:15]
	v_mov_b32_e32 v9, v7
	s_andn2_b64 exec, exec, s[14:15]
	s_cbranch_execnz .LBB4_868
.LBB4_869:                              ;   in Loop: Header=BB4_3 Depth=1
	s_or_b64 exec, exec, s[16:17]
	s_and_b64 vcc, exec, s[6:7]
	s_cbranch_vccz .LBB4_1041
; %bb.870:                              ;   in Loop: Header=BB4_3 Depth=1
	s_waitcnt vmcnt(0)
	v_and_b32_e32 v7, -3, v13
	v_mov_b32_e32 v8, v14
	s_mov_b64 s[16:17], 6
	s_getpc_b64 s[14:15]
	s_add_u32 s14, s14, .str.7@rel32@lo+4
	s_addc_u32 s15, s15, .str.7@rel32@hi+12
	s_branch .LBB4_872
.LBB4_871:                              ;   in Loop: Header=BB4_872 Depth=2
	s_or_b64 exec, exec, s[22:23]
	s_sub_u32 s16, s16, s18
	s_subb_u32 s17, s17, s19
	s_add_u32 s14, s14, s18
	s_addc_u32 s15, s15, s19
	s_cmp_lg_u64 s[16:17], 0
	s_cbranch_scc0 .LBB4_954
.LBB4_872:                              ;   Parent Loop BB4_3 Depth=1
                                        ; =>  This Loop Header: Depth=2
                                        ;       Child Loop BB4_875 Depth 3
                                        ;       Child Loop BB4_883 Depth 3
	;; [unrolled: 1-line block ×11, first 2 shown]
	v_cmp_lt_u64_e64 s[0:1], s[16:17], 56
	v_cmp_gt_u64_e64 s[20:21], s[16:17], 7
	s_and_b64 s[0:1], s[0:1], exec
	s_cselect_b32 s19, s17, 0
	s_cselect_b32 s18, s16, 56
	s_add_u32 s0, s14, 8
	s_addc_u32 s1, s15, 0
	s_and_b64 vcc, exec, s[20:21]
	s_cbranch_vccnz .LBB4_876
; %bb.873:                              ;   in Loop: Header=BB4_872 Depth=2
	s_cmp_eq_u64 s[16:17], 0
	s_cbranch_scc1 .LBB4_877
; %bb.874:                              ;   in Loop: Header=BB4_872 Depth=2
	v_mov_b32_e32 v9, 0
	s_lshl_b64 s[0:1], s[18:19], 3
	s_mov_b64 s[20:21], 0
	v_mov_b32_e32 v10, 0
	s_mov_b64 s[22:23], s[14:15]
.LBB4_875:                              ;   Parent Loop BB4_3 Depth=1
                                        ;     Parent Loop BB4_872 Depth=2
                                        ; =>    This Inner Loop Header: Depth=3
	global_load_ubyte v1, v2, s[22:23]
	s_waitcnt vmcnt(0)
	v_and_b32_e32 v1, 0xffff, v1
	v_lshlrev_b64 v[3:4], s20, v[1:2]
	s_add_u32 s20, s20, 8
	s_addc_u32 s21, s21, 0
	s_add_u32 s22, s22, 1
	s_addc_u32 s23, s23, 0
	v_or_b32_e32 v9, v3, v9
	s_cmp_lg_u32 s0, s20
	v_or_b32_e32 v10, v4, v10
	s_cbranch_scc1 .LBB4_875
	s_branch .LBB4_878
.LBB4_876:                              ;   in Loop: Header=BB4_872 Depth=2
	s_mov_b32 s24, 0
	s_branch .LBB4_879
.LBB4_877:                              ;   in Loop: Header=BB4_872 Depth=2
	v_mov_b32_e32 v9, 0
	v_mov_b32_e32 v10, 0
.LBB4_878:                              ;   in Loop: Header=BB4_872 Depth=2
	s_mov_b64 s[0:1], s[14:15]
	s_mov_b32 s24, 0
	s_cbranch_execnz .LBB4_880
.LBB4_879:                              ;   in Loop: Header=BB4_872 Depth=2
	global_load_dwordx2 v[9:10], v2, s[14:15]
	s_add_i32 s24, s18, -8
.LBB4_880:                              ;   in Loop: Header=BB4_872 Depth=2
	s_add_u32 s20, s0, 8
	s_addc_u32 s21, s1, 0
	s_cmp_gt_u32 s24, 7
	s_cbranch_scc1 .LBB4_884
; %bb.881:                              ;   in Loop: Header=BB4_872 Depth=2
	s_cmp_eq_u32 s24, 0
	s_cbranch_scc1 .LBB4_885
; %bb.882:                              ;   in Loop: Header=BB4_872 Depth=2
	v_mov_b32_e32 v15, 0
	s_mov_b64 s[20:21], 0
	v_mov_b32_e32 v16, 0
	s_mov_b64 s[22:23], 0
.LBB4_883:                              ;   Parent Loop BB4_3 Depth=1
                                        ;     Parent Loop BB4_872 Depth=2
                                        ; =>    This Inner Loop Header: Depth=3
	s_add_u32 s26, s0, s22
	s_addc_u32 s27, s1, s23
	global_load_ubyte v1, v2, s[26:27]
	s_add_u32 s22, s22, 1
	s_addc_u32 s23, s23, 0
	s_waitcnt vmcnt(0)
	v_and_b32_e32 v1, 0xffff, v1
	v_lshlrev_b64 v[3:4], s20, v[1:2]
	s_add_u32 s20, s20, 8
	s_addc_u32 s21, s21, 0
	v_or_b32_e32 v15, v3, v15
	s_cmp_lg_u32 s24, s22
	v_or_b32_e32 v16, v4, v16
	s_cbranch_scc1 .LBB4_883
	s_branch .LBB4_886
.LBB4_884:                              ;   in Loop: Header=BB4_872 Depth=2
                                        ; implicit-def: $vgpr15_vgpr16
	s_mov_b32 s25, 0
	s_branch .LBB4_887
.LBB4_885:                              ;   in Loop: Header=BB4_872 Depth=2
	v_mov_b32_e32 v15, 0
	v_mov_b32_e32 v16, 0
.LBB4_886:                              ;   in Loop: Header=BB4_872 Depth=2
	s_mov_b64 s[20:21], s[0:1]
	s_mov_b32 s25, 0
	s_cbranch_execnz .LBB4_888
.LBB4_887:                              ;   in Loop: Header=BB4_872 Depth=2
	global_load_dwordx2 v[15:16], v2, s[0:1]
	s_add_i32 s25, s24, -8
.LBB4_888:                              ;   in Loop: Header=BB4_872 Depth=2
	s_add_u32 s0, s20, 8
	s_addc_u32 s1, s21, 0
	s_cmp_gt_u32 s25, 7
	s_cbranch_scc1 .LBB4_892
; %bb.889:                              ;   in Loop: Header=BB4_872 Depth=2
	s_cmp_eq_u32 s25, 0
	s_cbranch_scc1 .LBB4_893
; %bb.890:                              ;   in Loop: Header=BB4_872 Depth=2
	v_mov_b32_e32 v17, 0
	s_mov_b64 s[0:1], 0
	v_mov_b32_e32 v18, 0
	s_mov_b64 s[22:23], 0
.LBB4_891:                              ;   Parent Loop BB4_3 Depth=1
                                        ;     Parent Loop BB4_872 Depth=2
                                        ; =>    This Inner Loop Header: Depth=3
	s_add_u32 s26, s20, s22
	s_addc_u32 s27, s21, s23
	global_load_ubyte v1, v2, s[26:27]
	s_add_u32 s22, s22, 1
	s_addc_u32 s23, s23, 0
	s_waitcnt vmcnt(0)
	v_and_b32_e32 v1, 0xffff, v1
	v_lshlrev_b64 v[3:4], s0, v[1:2]
	s_add_u32 s0, s0, 8
	s_addc_u32 s1, s1, 0
	v_or_b32_e32 v17, v3, v17
	s_cmp_lg_u32 s25, s22
	v_or_b32_e32 v18, v4, v18
	s_cbranch_scc1 .LBB4_891
	s_branch .LBB4_894
.LBB4_892:                              ;   in Loop: Header=BB4_872 Depth=2
	s_mov_b32 s24, 0
	s_branch .LBB4_895
.LBB4_893:                              ;   in Loop: Header=BB4_872 Depth=2
	v_mov_b32_e32 v17, 0
	v_mov_b32_e32 v18, 0
.LBB4_894:                              ;   in Loop: Header=BB4_872 Depth=2
	s_mov_b64 s[0:1], s[20:21]
	s_mov_b32 s24, 0
	s_cbranch_execnz .LBB4_896
.LBB4_895:                              ;   in Loop: Header=BB4_872 Depth=2
	global_load_dwordx2 v[17:18], v2, s[20:21]
	s_add_i32 s24, s25, -8
.LBB4_896:                              ;   in Loop: Header=BB4_872 Depth=2
	s_add_u32 s20, s0, 8
	s_addc_u32 s21, s1, 0
	s_cmp_gt_u32 s24, 7
	s_cbranch_scc1 .LBB4_900
; %bb.897:                              ;   in Loop: Header=BB4_872 Depth=2
	s_cmp_eq_u32 s24, 0
	s_cbranch_scc1 .LBB4_901
; %bb.898:                              ;   in Loop: Header=BB4_872 Depth=2
	v_mov_b32_e32 v19, 0
	s_mov_b64 s[20:21], 0
	v_mov_b32_e32 v20, 0
	s_mov_b64 s[22:23], 0
.LBB4_899:                              ;   Parent Loop BB4_3 Depth=1
                                        ;     Parent Loop BB4_872 Depth=2
                                        ; =>    This Inner Loop Header: Depth=3
	s_add_u32 s26, s0, s22
	s_addc_u32 s27, s1, s23
	global_load_ubyte v1, v2, s[26:27]
	s_add_u32 s22, s22, 1
	s_addc_u32 s23, s23, 0
	s_waitcnt vmcnt(0)
	v_and_b32_e32 v1, 0xffff, v1
	v_lshlrev_b64 v[3:4], s20, v[1:2]
	s_add_u32 s20, s20, 8
	s_addc_u32 s21, s21, 0
	v_or_b32_e32 v19, v3, v19
	s_cmp_lg_u32 s24, s22
	v_or_b32_e32 v20, v4, v20
	s_cbranch_scc1 .LBB4_899
	s_branch .LBB4_902
.LBB4_900:                              ;   in Loop: Header=BB4_872 Depth=2
                                        ; implicit-def: $vgpr19_vgpr20
	s_mov_b32 s25, 0
	s_branch .LBB4_903
.LBB4_901:                              ;   in Loop: Header=BB4_872 Depth=2
	v_mov_b32_e32 v19, 0
	v_mov_b32_e32 v20, 0
.LBB4_902:                              ;   in Loop: Header=BB4_872 Depth=2
	s_mov_b64 s[20:21], s[0:1]
	s_mov_b32 s25, 0
	s_cbranch_execnz .LBB4_904
.LBB4_903:                              ;   in Loop: Header=BB4_872 Depth=2
	global_load_dwordx2 v[19:20], v2, s[0:1]
	s_add_i32 s25, s24, -8
.LBB4_904:                              ;   in Loop: Header=BB4_872 Depth=2
	s_add_u32 s0, s20, 8
	s_addc_u32 s1, s21, 0
	s_cmp_gt_u32 s25, 7
	s_cbranch_scc1 .LBB4_908
; %bb.905:                              ;   in Loop: Header=BB4_872 Depth=2
	s_cmp_eq_u32 s25, 0
	s_cbranch_scc1 .LBB4_909
; %bb.906:                              ;   in Loop: Header=BB4_872 Depth=2
	v_mov_b32_e32 v21, 0
	s_mov_b64 s[0:1], 0
	v_mov_b32_e32 v22, 0
	s_mov_b64 s[22:23], 0
.LBB4_907:                              ;   Parent Loop BB4_3 Depth=1
                                        ;     Parent Loop BB4_872 Depth=2
                                        ; =>    This Inner Loop Header: Depth=3
	s_add_u32 s26, s20, s22
	s_addc_u32 s27, s21, s23
	global_load_ubyte v1, v2, s[26:27]
	s_add_u32 s22, s22, 1
	s_addc_u32 s23, s23, 0
	s_waitcnt vmcnt(0)
	v_and_b32_e32 v1, 0xffff, v1
	v_lshlrev_b64 v[3:4], s0, v[1:2]
	s_add_u32 s0, s0, 8
	s_addc_u32 s1, s1, 0
	v_or_b32_e32 v21, v3, v21
	s_cmp_lg_u32 s25, s22
	v_or_b32_e32 v22, v4, v22
	s_cbranch_scc1 .LBB4_907
	s_branch .LBB4_910
.LBB4_908:                              ;   in Loop: Header=BB4_872 Depth=2
	s_mov_b32 s24, 0
	s_branch .LBB4_911
.LBB4_909:                              ;   in Loop: Header=BB4_872 Depth=2
	v_mov_b32_e32 v21, 0
	v_mov_b32_e32 v22, 0
.LBB4_910:                              ;   in Loop: Header=BB4_872 Depth=2
	s_mov_b64 s[0:1], s[20:21]
	s_mov_b32 s24, 0
	s_cbranch_execnz .LBB4_912
.LBB4_911:                              ;   in Loop: Header=BB4_872 Depth=2
	global_load_dwordx2 v[21:22], v2, s[20:21]
	s_add_i32 s24, s25, -8
.LBB4_912:                              ;   in Loop: Header=BB4_872 Depth=2
	s_add_u32 s20, s0, 8
	s_addc_u32 s21, s1, 0
	s_cmp_gt_u32 s24, 7
	s_cbranch_scc1 .LBB4_916
; %bb.913:                              ;   in Loop: Header=BB4_872 Depth=2
	s_cmp_eq_u32 s24, 0
	s_cbranch_scc1 .LBB4_917
; %bb.914:                              ;   in Loop: Header=BB4_872 Depth=2
	v_mov_b32_e32 v23, 0
	s_mov_b64 s[20:21], 0
	v_mov_b32_e32 v24, 0
	s_mov_b64 s[22:23], 0
.LBB4_915:                              ;   Parent Loop BB4_3 Depth=1
                                        ;     Parent Loop BB4_872 Depth=2
                                        ; =>    This Inner Loop Header: Depth=3
	s_add_u32 s26, s0, s22
	s_addc_u32 s27, s1, s23
	global_load_ubyte v1, v2, s[26:27]
	s_add_u32 s22, s22, 1
	s_addc_u32 s23, s23, 0
	s_waitcnt vmcnt(0)
	v_and_b32_e32 v1, 0xffff, v1
	v_lshlrev_b64 v[3:4], s20, v[1:2]
	s_add_u32 s20, s20, 8
	s_addc_u32 s21, s21, 0
	v_or_b32_e32 v23, v3, v23
	s_cmp_lg_u32 s24, s22
	v_or_b32_e32 v24, v4, v24
	s_cbranch_scc1 .LBB4_915
	s_branch .LBB4_918
.LBB4_916:                              ;   in Loop: Header=BB4_872 Depth=2
                                        ; implicit-def: $vgpr23_vgpr24
	s_mov_b32 s25, 0
	s_branch .LBB4_919
.LBB4_917:                              ;   in Loop: Header=BB4_872 Depth=2
	v_mov_b32_e32 v23, 0
	v_mov_b32_e32 v24, 0
.LBB4_918:                              ;   in Loop: Header=BB4_872 Depth=2
	s_mov_b64 s[20:21], s[0:1]
	s_mov_b32 s25, 0
	s_cbranch_execnz .LBB4_920
.LBB4_919:                              ;   in Loop: Header=BB4_872 Depth=2
	global_load_dwordx2 v[23:24], v2, s[0:1]
	s_add_i32 s25, s24, -8
.LBB4_920:                              ;   in Loop: Header=BB4_872 Depth=2
	s_cmp_gt_u32 s25, 7
	s_cbranch_scc1 .LBB4_924
; %bb.921:                              ;   in Loop: Header=BB4_872 Depth=2
	s_cmp_eq_u32 s25, 0
	s_cbranch_scc1 .LBB4_925
; %bb.922:                              ;   in Loop: Header=BB4_872 Depth=2
	v_mov_b32_e32 v25, 0
	s_mov_b64 s[0:1], 0
	v_mov_b32_e32 v26, 0
	s_mov_b64 s[22:23], s[20:21]
.LBB4_923:                              ;   Parent Loop BB4_3 Depth=1
                                        ;     Parent Loop BB4_872 Depth=2
                                        ; =>    This Inner Loop Header: Depth=3
	global_load_ubyte v1, v2, s[22:23]
	s_add_i32 s25, s25, -1
	s_waitcnt vmcnt(0)
	v_and_b32_e32 v1, 0xffff, v1
	v_lshlrev_b64 v[3:4], s0, v[1:2]
	s_add_u32 s0, s0, 8
	s_addc_u32 s1, s1, 0
	s_add_u32 s22, s22, 1
	s_addc_u32 s23, s23, 0
	v_or_b32_e32 v25, v3, v25
	s_cmp_lg_u32 s25, 0
	v_or_b32_e32 v26, v4, v26
	s_cbranch_scc1 .LBB4_923
	s_branch .LBB4_926
.LBB4_924:                              ;   in Loop: Header=BB4_872 Depth=2
	s_branch .LBB4_927
.LBB4_925:                              ;   in Loop: Header=BB4_872 Depth=2
	v_mov_b32_e32 v25, 0
	v_mov_b32_e32 v26, 0
.LBB4_926:                              ;   in Loop: Header=BB4_872 Depth=2
	s_cbranch_execnz .LBB4_928
.LBB4_927:                              ;   in Loop: Header=BB4_872 Depth=2
	global_load_dwordx2 v[25:26], v2, s[20:21]
.LBB4_928:                              ;   in Loop: Header=BB4_872 Depth=2
	v_readfirstlane_b32 s0, v40
	v_mov_b32_e32 v3, 0
	v_mov_b32_e32 v4, 0
	v_cmp_eq_u32_e64 s[0:1], s0, v40
	s_and_saveexec_b64 s[20:21], s[0:1]
	s_cbranch_execz .LBB4_934
; %bb.929:                              ;   in Loop: Header=BB4_872 Depth=2
	global_load_dwordx2 v[29:30], v2, s[2:3] offset:24 glc
	s_waitcnt vmcnt(0)
	buffer_wbinvl1_vol
	global_load_dwordx2 v[3:4], v2, s[2:3] offset:40
	global_load_dwordx2 v[27:28], v2, s[2:3]
	s_waitcnt vmcnt(1)
	v_and_b32_e32 v1, v3, v29
	v_and_b32_e32 v3, v4, v30
	v_mul_lo_u32 v3, v3, 24
	v_mul_hi_u32 v4, v1, 24
	v_mul_lo_u32 v1, v1, 24
	v_add_u32_e32 v4, v4, v3
	s_waitcnt vmcnt(0)
	v_add_co_u32_e32 v3, vcc, v27, v1
	v_addc_co_u32_e32 v4, vcc, v28, v4, vcc
	global_load_dwordx2 v[27:28], v[3:4], off glc
	s_waitcnt vmcnt(0)
	global_atomic_cmpswap_x2 v[3:4], v2, v[27:30], s[2:3] offset:24 glc
	s_waitcnt vmcnt(0)
	buffer_wbinvl1_vol
	v_cmp_ne_u64_e32 vcc, v[3:4], v[29:30]
	s_and_saveexec_b64 s[22:23], vcc
	s_cbranch_execz .LBB4_933
; %bb.930:                              ;   in Loop: Header=BB4_872 Depth=2
	s_mov_b64 s[24:25], 0
.LBB4_931:                              ;   Parent Loop BB4_3 Depth=1
                                        ;     Parent Loop BB4_872 Depth=2
                                        ; =>    This Inner Loop Header: Depth=3
	s_sleep 1
	global_load_dwordx2 v[27:28], v2, s[2:3] offset:40
	global_load_dwordx2 v[31:32], v2, s[2:3]
	v_mov_b32_e32 v30, v4
	v_mov_b32_e32 v29, v3
	s_waitcnt vmcnt(1)
	v_and_b32_e32 v1, v27, v29
	s_waitcnt vmcnt(0)
	v_mad_u64_u32 v[3:4], s[26:27], v1, 24, v[31:32]
	v_and_b32_e32 v11, v28, v30
	v_mov_b32_e32 v1, v4
	v_mad_u64_u32 v[27:28], s[26:27], v11, 24, v[1:2]
	v_mov_b32_e32 v4, v27
	global_load_dwordx2 v[27:28], v[3:4], off glc
	s_waitcnt vmcnt(0)
	global_atomic_cmpswap_x2 v[3:4], v2, v[27:30], s[2:3] offset:24 glc
	s_waitcnt vmcnt(0)
	buffer_wbinvl1_vol
	v_cmp_eq_u64_e32 vcc, v[3:4], v[29:30]
	s_or_b64 s[24:25], vcc, s[24:25]
	s_andn2_b64 exec, exec, s[24:25]
	s_cbranch_execnz .LBB4_931
; %bb.932:                              ;   in Loop: Header=BB4_872 Depth=2
	s_or_b64 exec, exec, s[24:25]
.LBB4_933:                              ;   in Loop: Header=BB4_872 Depth=2
	s_or_b64 exec, exec, s[22:23]
.LBB4_934:                              ;   in Loop: Header=BB4_872 Depth=2
	s_or_b64 exec, exec, s[20:21]
	global_load_dwordx2 v[31:32], v2, s[2:3] offset:40
	global_load_dwordx4 v[27:30], v2, s[2:3]
	v_readfirstlane_b32 s21, v4
	v_readfirstlane_b32 s20, v3
	s_mov_b64 s[22:23], exec
	s_waitcnt vmcnt(1)
	v_readfirstlane_b32 s24, v31
	v_readfirstlane_b32 s25, v32
	s_and_b64 s[24:25], s[24:25], s[20:21]
	s_mul_i32 s26, s25, 24
	s_mul_hi_u32 s27, s24, 24
	s_mul_i32 s33, s24, 24
	s_add_i32 s26, s27, s26
	v_mov_b32_e32 v1, s26
	s_waitcnt vmcnt(0)
	v_add_co_u32_e32 v31, vcc, s33, v27
	v_addc_co_u32_e32 v32, vcc, v28, v1, vcc
	s_and_saveexec_b64 s[26:27], s[0:1]
	s_cbranch_execz .LBB4_936
; %bb.935:                              ;   in Loop: Header=BB4_872 Depth=2
	v_mov_b32_e32 v3, s22
	v_mov_b32_e32 v4, s23
	global_store_dwordx4 v[31:32], v[3:6], off offset:8
.LBB4_936:                              ;   in Loop: Header=BB4_872 Depth=2
	s_or_b64 exec, exec, s[26:27]
	s_lshl_b64 s[22:23], s[24:25], 12
	v_mov_b32_e32 v1, s23
	v_add_co_u32_e32 v11, vcc, s22, v29
	v_addc_co_u32_e32 v29, vcc, v30, v1, vcc
	v_cmp_lt_u64_e64 vcc, s[16:17], 57
	v_and_b32_e32 v1, 2, v13
	s_lshl_b32 s22, s18, 2
	v_cndmask_b32_e32 v1, 0, v1, vcc
	s_add_i32 s22, s22, 28
	v_and_b32_e32 v3, 0xffffff1f, v7
	s_and_b32 s22, s22, 0x1e0
	v_or_b32_e32 v1, v3, v1
	v_or_b32_e32 v7, s22, v1
	v_readfirstlane_b32 s22, v11
	v_readfirstlane_b32 s23, v29
	s_nop 4
	global_store_dwordx4 v43, v[7:10], s[22:23]
	global_store_dwordx4 v43, v[15:18], s[22:23] offset:16
	global_store_dwordx4 v43, v[19:22], s[22:23] offset:32
	;; [unrolled: 1-line block ×3, first 2 shown]
	s_and_saveexec_b64 s[22:23], s[0:1]
	s_cbranch_execz .LBB4_944
; %bb.937:                              ;   in Loop: Header=BB4_872 Depth=2
	global_load_dwordx2 v[17:18], v2, s[2:3] offset:32 glc
	global_load_dwordx2 v[3:4], v2, s[2:3] offset:40
	v_mov_b32_e32 v15, s20
	v_mov_b32_e32 v16, s21
	s_waitcnt vmcnt(0)
	v_readfirstlane_b32 s24, v3
	v_readfirstlane_b32 s25, v4
	s_and_b64 s[24:25], s[24:25], s[20:21]
	s_mul_i32 s25, s25, 24
	s_mul_hi_u32 s26, s24, 24
	s_mul_i32 s24, s24, 24
	s_add_i32 s25, s26, s25
	v_mov_b32_e32 v1, s25
	v_add_co_u32_e32 v3, vcc, s24, v27
	v_addc_co_u32_e32 v4, vcc, v28, v1, vcc
	global_store_dwordx2 v[3:4], v[17:18], off
	s_waitcnt vmcnt(0)
	global_atomic_cmpswap_x2 v[9:10], v2, v[15:18], s[2:3] offset:32 glc
	s_waitcnt vmcnt(0)
	v_cmp_ne_u64_e32 vcc, v[9:10], v[17:18]
	s_and_saveexec_b64 s[24:25], vcc
	s_cbranch_execz .LBB4_940
; %bb.938:                              ;   in Loop: Header=BB4_872 Depth=2
	s_mov_b64 s[26:27], 0
.LBB4_939:                              ;   Parent Loop BB4_3 Depth=1
                                        ;     Parent Loop BB4_872 Depth=2
                                        ; =>    This Inner Loop Header: Depth=3
	s_sleep 1
	global_store_dwordx2 v[3:4], v[9:10], off
	v_mov_b32_e32 v7, s20
	v_mov_b32_e32 v8, s21
	s_waitcnt vmcnt(0)
	global_atomic_cmpswap_x2 v[7:8], v2, v[7:10], s[2:3] offset:32 glc
	s_waitcnt vmcnt(0)
	v_cmp_eq_u64_e32 vcc, v[7:8], v[9:10]
	v_mov_b32_e32 v10, v8
	s_or_b64 s[26:27], vcc, s[26:27]
	v_mov_b32_e32 v9, v7
	s_andn2_b64 exec, exec, s[26:27]
	s_cbranch_execnz .LBB4_939
.LBB4_940:                              ;   in Loop: Header=BB4_872 Depth=2
	s_or_b64 exec, exec, s[24:25]
	global_load_dwordx2 v[3:4], v2, s[2:3] offset:16
	s_mov_b64 s[26:27], exec
	v_mbcnt_lo_u32_b32 v1, s26, 0
	v_mbcnt_hi_u32_b32 v1, s27, v1
	v_cmp_eq_u32_e32 vcc, 0, v1
	s_and_saveexec_b64 s[24:25], vcc
	s_cbranch_execz .LBB4_942
; %bb.941:                              ;   in Loop: Header=BB4_872 Depth=2
	s_bcnt1_i32_b64 s26, s[26:27]
	v_mov_b32_e32 v1, s26
	s_waitcnt vmcnt(0)
	global_atomic_add_x2 v[3:4], v[1:2], off offset:8
.LBB4_942:                              ;   in Loop: Header=BB4_872 Depth=2
	s_or_b64 exec, exec, s[24:25]
	s_waitcnt vmcnt(0)
	global_load_dwordx2 v[7:8], v[3:4], off offset:16
	s_waitcnt vmcnt(0)
	v_cmp_eq_u64_e32 vcc, 0, v[7:8]
	s_cbranch_vccnz .LBB4_944
; %bb.943:                              ;   in Loop: Header=BB4_872 Depth=2
	global_load_dword v1, v[3:4], off offset:24
	s_waitcnt vmcnt(0)
	v_readfirstlane_b32 s24, v1
	s_and_b32 m0, s24, 0xffffff
	global_store_dwordx2 v[7:8], v[1:2], off
	s_sendmsg sendmsg(MSG_INTERRUPT)
.LBB4_944:                              ;   in Loop: Header=BB4_872 Depth=2
	s_or_b64 exec, exec, s[22:23]
	v_add_co_u32_e32 v3, vcc, v11, v43
	v_addc_co_u32_e32 v4, vcc, 0, v29, vcc
	s_branch .LBB4_948
.LBB4_945:                              ;   in Loop: Header=BB4_948 Depth=3
	s_or_b64 exec, exec, s[22:23]
	v_readfirstlane_b32 s22, v1
	s_cmp_eq_u32 s22, 0
	s_cbranch_scc1 .LBB4_947
; %bb.946:                              ;   in Loop: Header=BB4_948 Depth=3
	s_sleep 1
	s_cbranch_execnz .LBB4_948
	s_branch .LBB4_950
.LBB4_947:                              ;   in Loop: Header=BB4_872 Depth=2
	s_branch .LBB4_950
.LBB4_948:                              ;   Parent Loop BB4_3 Depth=1
                                        ;     Parent Loop BB4_872 Depth=2
                                        ; =>    This Inner Loop Header: Depth=3
	v_mov_b32_e32 v1, 1
	s_and_saveexec_b64 s[22:23], s[0:1]
	s_cbranch_execz .LBB4_945
; %bb.949:                              ;   in Loop: Header=BB4_948 Depth=3
	global_load_dword v1, v[31:32], off offset:20 glc
	s_waitcnt vmcnt(0)
	buffer_wbinvl1_vol
	v_and_b32_e32 v1, 1, v1
	s_branch .LBB4_945
.LBB4_950:                              ;   in Loop: Header=BB4_872 Depth=2
	global_load_dwordx2 v[7:8], v[3:4], off
	s_and_saveexec_b64 s[22:23], s[0:1]
	s_cbranch_execz .LBB4_871
; %bb.951:                              ;   in Loop: Header=BB4_872 Depth=2
	global_load_dwordx2 v[3:4], v2, s[2:3] offset:40
	global_load_dwordx2 v[19:20], v2, s[2:3] offset:24 glc
	global_load_dwordx2 v[9:10], v2, s[2:3]
	s_waitcnt vmcnt(2)
	v_readfirstlane_b32 s24, v3
	v_readfirstlane_b32 s25, v4
	s_add_u32 s26, s24, 1
	s_addc_u32 s27, s25, 0
	s_add_u32 s0, s26, s20
	s_addc_u32 s1, s27, s21
	s_cmp_eq_u64 s[0:1], 0
	s_cselect_b32 s1, s27, s1
	s_cselect_b32 s0, s26, s0
	s_and_b64 s[20:21], s[0:1], s[24:25]
	s_mul_i32 s21, s21, 24
	s_mul_hi_u32 s24, s20, 24
	s_mul_i32 s20, s20, 24
	s_add_i32 s21, s24, s21
	v_mov_b32_e32 v1, s21
	s_waitcnt vmcnt(0)
	v_add_co_u32_e32 v3, vcc, s20, v9
	v_addc_co_u32_e32 v4, vcc, v10, v1, vcc
	v_mov_b32_e32 v17, s0
	global_store_dwordx2 v[3:4], v[19:20], off
	v_mov_b32_e32 v18, s1
	s_waitcnt vmcnt(0)
	global_atomic_cmpswap_x2 v[17:18], v2, v[17:20], s[2:3] offset:24 glc
	s_waitcnt vmcnt(0)
	v_cmp_ne_u64_e32 vcc, v[17:18], v[19:20]
	s_and_b64 exec, exec, vcc
	s_cbranch_execz .LBB4_871
; %bb.952:                              ;   in Loop: Header=BB4_872 Depth=2
	s_mov_b64 s[20:21], 0
.LBB4_953:                              ;   Parent Loop BB4_3 Depth=1
                                        ;     Parent Loop BB4_872 Depth=2
                                        ; =>    This Inner Loop Header: Depth=3
	s_sleep 1
	global_store_dwordx2 v[3:4], v[17:18], off
	v_mov_b32_e32 v15, s0
	v_mov_b32_e32 v16, s1
	s_waitcnt vmcnt(0)
	global_atomic_cmpswap_x2 v[9:10], v2, v[15:18], s[2:3] offset:24 glc
	s_waitcnt vmcnt(0)
	v_cmp_eq_u64_e32 vcc, v[9:10], v[17:18]
	v_mov_b32_e32 v18, v10
	s_or_b64 s[20:21], vcc, s[20:21]
	v_mov_b32_e32 v17, v9
	s_andn2_b64 exec, exec, s[20:21]
	s_cbranch_execnz .LBB4_953
	s_branch .LBB4_871
.LBB4_954:                              ;   in Loop: Header=BB4_3 Depth=1
.LBB4_955:                              ;   in Loop: Header=BB4_3 Depth=1
	s_and_b64 vcc, exec, s[12:13]
	s_cbranch_vccz .LBB4_1069
.LBB4_956:                              ;   in Loop: Header=BB4_3 Depth=1
	s_waitcnt vmcnt(0)
	v_and_b32_e32 v13, -3, v7
	v_mov_b32_e32 v14, v8
	s_mov_b64 s[16:17], 45
	s_getpc_b64 s[14:15]
	s_add_u32 s14, s14, .str.6@rel32@lo+4
	s_addc_u32 s15, s15, .str.6@rel32@hi+12
	s_branch .LBB4_958
.LBB4_957:                              ;   in Loop: Header=BB4_958 Depth=2
	s_or_b64 exec, exec, s[22:23]
	s_sub_u32 s16, s16, s18
	s_subb_u32 s17, s17, s19
	s_add_u32 s14, s14, s18
	s_addc_u32 s15, s15, s19
	s_cmp_lg_u64 s[16:17], 0
	s_cbranch_scc0 .LBB4_1040
.LBB4_958:                              ;   Parent Loop BB4_3 Depth=1
                                        ; =>  This Loop Header: Depth=2
                                        ;       Child Loop BB4_961 Depth 3
                                        ;       Child Loop BB4_969 Depth 3
	;; [unrolled: 1-line block ×11, first 2 shown]
	v_cmp_lt_u64_e64 s[0:1], s[16:17], 56
	v_cmp_gt_u64_e64 s[20:21], s[16:17], 7
	s_and_b64 s[0:1], s[0:1], exec
	s_cselect_b32 s19, s17, 0
	s_cselect_b32 s18, s16, 56
	s_add_u32 s0, s14, 8
	s_addc_u32 s1, s15, 0
	s_and_b64 vcc, exec, s[20:21]
	s_cbranch_vccnz .LBB4_962
; %bb.959:                              ;   in Loop: Header=BB4_958 Depth=2
	s_cmp_eq_u64 s[16:17], 0
	s_cbranch_scc1 .LBB4_963
; %bb.960:                              ;   in Loop: Header=BB4_958 Depth=2
	v_mov_b32_e32 v15, 0
	s_lshl_b64 s[0:1], s[18:19], 3
	s_mov_b64 s[20:21], 0
	v_mov_b32_e32 v16, 0
	s_mov_b64 s[22:23], s[14:15]
.LBB4_961:                              ;   Parent Loop BB4_3 Depth=1
                                        ;     Parent Loop BB4_958 Depth=2
                                        ; =>    This Inner Loop Header: Depth=3
	global_load_ubyte v1, v2, s[22:23]
	s_waitcnt vmcnt(0)
	v_and_b32_e32 v1, 0xffff, v1
	v_lshlrev_b64 v[3:4], s20, v[1:2]
	s_add_u32 s20, s20, 8
	s_addc_u32 s21, s21, 0
	s_add_u32 s22, s22, 1
	s_addc_u32 s23, s23, 0
	v_or_b32_e32 v15, v3, v15
	s_cmp_lg_u32 s0, s20
	v_or_b32_e32 v16, v4, v16
	s_cbranch_scc1 .LBB4_961
	s_branch .LBB4_964
.LBB4_962:                              ;   in Loop: Header=BB4_958 Depth=2
	s_mov_b32 s24, 0
	s_branch .LBB4_965
.LBB4_963:                              ;   in Loop: Header=BB4_958 Depth=2
	v_mov_b32_e32 v15, 0
	v_mov_b32_e32 v16, 0
.LBB4_964:                              ;   in Loop: Header=BB4_958 Depth=2
	s_mov_b64 s[0:1], s[14:15]
	s_mov_b32 s24, 0
	s_cbranch_execnz .LBB4_966
.LBB4_965:                              ;   in Loop: Header=BB4_958 Depth=2
	global_load_dwordx2 v[15:16], v2, s[14:15]
	s_add_i32 s24, s18, -8
.LBB4_966:                              ;   in Loop: Header=BB4_958 Depth=2
	s_add_u32 s20, s0, 8
	s_addc_u32 s21, s1, 0
	s_cmp_gt_u32 s24, 7
	s_cbranch_scc1 .LBB4_970
; %bb.967:                              ;   in Loop: Header=BB4_958 Depth=2
	s_cmp_eq_u32 s24, 0
	s_cbranch_scc1 .LBB4_971
; %bb.968:                              ;   in Loop: Header=BB4_958 Depth=2
	v_mov_b32_e32 v17, 0
	s_mov_b64 s[20:21], 0
	v_mov_b32_e32 v18, 0
	s_mov_b64 s[22:23], 0
.LBB4_969:                              ;   Parent Loop BB4_3 Depth=1
                                        ;     Parent Loop BB4_958 Depth=2
                                        ; =>    This Inner Loop Header: Depth=3
	s_add_u32 s26, s0, s22
	s_addc_u32 s27, s1, s23
	global_load_ubyte v1, v2, s[26:27]
	s_add_u32 s22, s22, 1
	s_addc_u32 s23, s23, 0
	s_waitcnt vmcnt(0)
	v_and_b32_e32 v1, 0xffff, v1
	v_lshlrev_b64 v[3:4], s20, v[1:2]
	s_add_u32 s20, s20, 8
	s_addc_u32 s21, s21, 0
	v_or_b32_e32 v17, v3, v17
	s_cmp_lg_u32 s24, s22
	v_or_b32_e32 v18, v4, v18
	s_cbranch_scc1 .LBB4_969
	s_branch .LBB4_972
.LBB4_970:                              ;   in Loop: Header=BB4_958 Depth=2
                                        ; implicit-def: $vgpr17_vgpr18
	s_mov_b32 s25, 0
	s_branch .LBB4_973
.LBB4_971:                              ;   in Loop: Header=BB4_958 Depth=2
	v_mov_b32_e32 v17, 0
	v_mov_b32_e32 v18, 0
.LBB4_972:                              ;   in Loop: Header=BB4_958 Depth=2
	s_mov_b64 s[20:21], s[0:1]
	s_mov_b32 s25, 0
	s_cbranch_execnz .LBB4_974
.LBB4_973:                              ;   in Loop: Header=BB4_958 Depth=2
	global_load_dwordx2 v[17:18], v2, s[0:1]
	s_add_i32 s25, s24, -8
.LBB4_974:                              ;   in Loop: Header=BB4_958 Depth=2
	s_add_u32 s0, s20, 8
	s_addc_u32 s1, s21, 0
	s_cmp_gt_u32 s25, 7
	s_cbranch_scc1 .LBB4_978
; %bb.975:                              ;   in Loop: Header=BB4_958 Depth=2
	s_cmp_eq_u32 s25, 0
	s_cbranch_scc1 .LBB4_979
; %bb.976:                              ;   in Loop: Header=BB4_958 Depth=2
	v_mov_b32_e32 v19, 0
	s_mov_b64 s[0:1], 0
	v_mov_b32_e32 v20, 0
	s_mov_b64 s[22:23], 0
.LBB4_977:                              ;   Parent Loop BB4_3 Depth=1
                                        ;     Parent Loop BB4_958 Depth=2
                                        ; =>    This Inner Loop Header: Depth=3
	s_add_u32 s26, s20, s22
	s_addc_u32 s27, s21, s23
	global_load_ubyte v1, v2, s[26:27]
	s_add_u32 s22, s22, 1
	s_addc_u32 s23, s23, 0
	s_waitcnt vmcnt(0)
	v_and_b32_e32 v1, 0xffff, v1
	v_lshlrev_b64 v[3:4], s0, v[1:2]
	s_add_u32 s0, s0, 8
	s_addc_u32 s1, s1, 0
	v_or_b32_e32 v19, v3, v19
	s_cmp_lg_u32 s25, s22
	v_or_b32_e32 v20, v4, v20
	s_cbranch_scc1 .LBB4_977
	s_branch .LBB4_980
.LBB4_978:                              ;   in Loop: Header=BB4_958 Depth=2
	s_mov_b32 s24, 0
	s_branch .LBB4_981
.LBB4_979:                              ;   in Loop: Header=BB4_958 Depth=2
	v_mov_b32_e32 v19, 0
	v_mov_b32_e32 v20, 0
.LBB4_980:                              ;   in Loop: Header=BB4_958 Depth=2
	s_mov_b64 s[0:1], s[20:21]
	s_mov_b32 s24, 0
	s_cbranch_execnz .LBB4_982
.LBB4_981:                              ;   in Loop: Header=BB4_958 Depth=2
	global_load_dwordx2 v[19:20], v2, s[20:21]
	s_add_i32 s24, s25, -8
.LBB4_982:                              ;   in Loop: Header=BB4_958 Depth=2
	s_add_u32 s20, s0, 8
	s_addc_u32 s21, s1, 0
	s_cmp_gt_u32 s24, 7
	s_cbranch_scc1 .LBB4_986
; %bb.983:                              ;   in Loop: Header=BB4_958 Depth=2
	s_cmp_eq_u32 s24, 0
	s_cbranch_scc1 .LBB4_987
; %bb.984:                              ;   in Loop: Header=BB4_958 Depth=2
	v_mov_b32_e32 v21, 0
	s_mov_b64 s[20:21], 0
	v_mov_b32_e32 v22, 0
	s_mov_b64 s[22:23], 0
.LBB4_985:                              ;   Parent Loop BB4_3 Depth=1
                                        ;     Parent Loop BB4_958 Depth=2
                                        ; =>    This Inner Loop Header: Depth=3
	s_add_u32 s26, s0, s22
	s_addc_u32 s27, s1, s23
	global_load_ubyte v1, v2, s[26:27]
	s_add_u32 s22, s22, 1
	s_addc_u32 s23, s23, 0
	s_waitcnt vmcnt(0)
	v_and_b32_e32 v1, 0xffff, v1
	v_lshlrev_b64 v[3:4], s20, v[1:2]
	s_add_u32 s20, s20, 8
	s_addc_u32 s21, s21, 0
	v_or_b32_e32 v21, v3, v21
	s_cmp_lg_u32 s24, s22
	v_or_b32_e32 v22, v4, v22
	s_cbranch_scc1 .LBB4_985
	s_branch .LBB4_988
.LBB4_986:                              ;   in Loop: Header=BB4_958 Depth=2
                                        ; implicit-def: $vgpr21_vgpr22
	s_mov_b32 s25, 0
	s_branch .LBB4_989
.LBB4_987:                              ;   in Loop: Header=BB4_958 Depth=2
	v_mov_b32_e32 v21, 0
	v_mov_b32_e32 v22, 0
.LBB4_988:                              ;   in Loop: Header=BB4_958 Depth=2
	s_mov_b64 s[20:21], s[0:1]
	s_mov_b32 s25, 0
	s_cbranch_execnz .LBB4_990
.LBB4_989:                              ;   in Loop: Header=BB4_958 Depth=2
	global_load_dwordx2 v[21:22], v2, s[0:1]
	s_add_i32 s25, s24, -8
.LBB4_990:                              ;   in Loop: Header=BB4_958 Depth=2
	s_add_u32 s0, s20, 8
	s_addc_u32 s1, s21, 0
	s_cmp_gt_u32 s25, 7
	s_cbranch_scc1 .LBB4_994
; %bb.991:                              ;   in Loop: Header=BB4_958 Depth=2
	s_cmp_eq_u32 s25, 0
	s_cbranch_scc1 .LBB4_995
; %bb.992:                              ;   in Loop: Header=BB4_958 Depth=2
	v_mov_b32_e32 v23, 0
	s_mov_b64 s[0:1], 0
	v_mov_b32_e32 v24, 0
	s_mov_b64 s[22:23], 0
.LBB4_993:                              ;   Parent Loop BB4_3 Depth=1
                                        ;     Parent Loop BB4_958 Depth=2
                                        ; =>    This Inner Loop Header: Depth=3
	s_add_u32 s26, s20, s22
	s_addc_u32 s27, s21, s23
	global_load_ubyte v1, v2, s[26:27]
	s_add_u32 s22, s22, 1
	s_addc_u32 s23, s23, 0
	s_waitcnt vmcnt(0)
	v_and_b32_e32 v1, 0xffff, v1
	v_lshlrev_b64 v[3:4], s0, v[1:2]
	s_add_u32 s0, s0, 8
	s_addc_u32 s1, s1, 0
	v_or_b32_e32 v23, v3, v23
	s_cmp_lg_u32 s25, s22
	v_or_b32_e32 v24, v4, v24
	s_cbranch_scc1 .LBB4_993
	s_branch .LBB4_996
.LBB4_994:                              ;   in Loop: Header=BB4_958 Depth=2
	s_mov_b32 s24, 0
	s_branch .LBB4_997
.LBB4_995:                              ;   in Loop: Header=BB4_958 Depth=2
	v_mov_b32_e32 v23, 0
	v_mov_b32_e32 v24, 0
.LBB4_996:                              ;   in Loop: Header=BB4_958 Depth=2
	s_mov_b64 s[0:1], s[20:21]
	s_mov_b32 s24, 0
	s_cbranch_execnz .LBB4_998
.LBB4_997:                              ;   in Loop: Header=BB4_958 Depth=2
	global_load_dwordx2 v[23:24], v2, s[20:21]
	s_add_i32 s24, s25, -8
.LBB4_998:                              ;   in Loop: Header=BB4_958 Depth=2
	s_add_u32 s20, s0, 8
	s_addc_u32 s21, s1, 0
	s_cmp_gt_u32 s24, 7
	s_cbranch_scc1 .LBB4_1002
; %bb.999:                              ;   in Loop: Header=BB4_958 Depth=2
	s_cmp_eq_u32 s24, 0
	s_cbranch_scc1 .LBB4_1003
; %bb.1000:                             ;   in Loop: Header=BB4_958 Depth=2
	v_mov_b32_e32 v25, 0
	s_mov_b64 s[20:21], 0
	v_mov_b32_e32 v26, 0
	s_mov_b64 s[22:23], 0
.LBB4_1001:                             ;   Parent Loop BB4_3 Depth=1
                                        ;     Parent Loop BB4_958 Depth=2
                                        ; =>    This Inner Loop Header: Depth=3
	s_add_u32 s26, s0, s22
	s_addc_u32 s27, s1, s23
	global_load_ubyte v1, v2, s[26:27]
	s_add_u32 s22, s22, 1
	s_addc_u32 s23, s23, 0
	s_waitcnt vmcnt(0)
	v_and_b32_e32 v1, 0xffff, v1
	v_lshlrev_b64 v[3:4], s20, v[1:2]
	s_add_u32 s20, s20, 8
	s_addc_u32 s21, s21, 0
	v_or_b32_e32 v25, v3, v25
	s_cmp_lg_u32 s24, s22
	v_or_b32_e32 v26, v4, v26
	s_cbranch_scc1 .LBB4_1001
	s_branch .LBB4_1004
.LBB4_1002:                             ;   in Loop: Header=BB4_958 Depth=2
                                        ; implicit-def: $vgpr25_vgpr26
	s_mov_b32 s25, 0
	s_branch .LBB4_1005
.LBB4_1003:                             ;   in Loop: Header=BB4_958 Depth=2
	v_mov_b32_e32 v25, 0
	v_mov_b32_e32 v26, 0
.LBB4_1004:                             ;   in Loop: Header=BB4_958 Depth=2
	s_mov_b64 s[20:21], s[0:1]
	s_mov_b32 s25, 0
	s_cbranch_execnz .LBB4_1006
.LBB4_1005:                             ;   in Loop: Header=BB4_958 Depth=2
	global_load_dwordx2 v[25:26], v2, s[0:1]
	s_add_i32 s25, s24, -8
.LBB4_1006:                             ;   in Loop: Header=BB4_958 Depth=2
	s_cmp_gt_u32 s25, 7
	s_cbranch_scc1 .LBB4_1010
; %bb.1007:                             ;   in Loop: Header=BB4_958 Depth=2
	s_cmp_eq_u32 s25, 0
	s_cbranch_scc1 .LBB4_1011
; %bb.1008:                             ;   in Loop: Header=BB4_958 Depth=2
	v_mov_b32_e32 v27, 0
	s_mov_b64 s[0:1], 0
	v_mov_b32_e32 v28, 0
	s_mov_b64 s[22:23], s[20:21]
.LBB4_1009:                             ;   Parent Loop BB4_3 Depth=1
                                        ;     Parent Loop BB4_958 Depth=2
                                        ; =>    This Inner Loop Header: Depth=3
	global_load_ubyte v1, v2, s[22:23]
	s_add_i32 s25, s25, -1
	s_waitcnt vmcnt(0)
	v_and_b32_e32 v1, 0xffff, v1
	v_lshlrev_b64 v[3:4], s0, v[1:2]
	s_add_u32 s0, s0, 8
	s_addc_u32 s1, s1, 0
	s_add_u32 s22, s22, 1
	s_addc_u32 s23, s23, 0
	v_or_b32_e32 v27, v3, v27
	s_cmp_lg_u32 s25, 0
	v_or_b32_e32 v28, v4, v28
	s_cbranch_scc1 .LBB4_1009
	s_branch .LBB4_1012
.LBB4_1010:                             ;   in Loop: Header=BB4_958 Depth=2
	s_branch .LBB4_1013
.LBB4_1011:                             ;   in Loop: Header=BB4_958 Depth=2
	v_mov_b32_e32 v27, 0
	v_mov_b32_e32 v28, 0
.LBB4_1012:                             ;   in Loop: Header=BB4_958 Depth=2
	s_cbranch_execnz .LBB4_1014
.LBB4_1013:                             ;   in Loop: Header=BB4_958 Depth=2
	global_load_dwordx2 v[27:28], v2, s[20:21]
.LBB4_1014:                             ;   in Loop: Header=BB4_958 Depth=2
	v_readfirstlane_b32 s0, v40
	v_mov_b32_e32 v3, 0
	v_mov_b32_e32 v4, 0
	v_cmp_eq_u32_e64 s[0:1], s0, v40
	s_and_saveexec_b64 s[20:21], s[0:1]
	s_cbranch_execz .LBB4_1020
; %bb.1015:                             ;   in Loop: Header=BB4_958 Depth=2
	global_load_dwordx2 v[31:32], v2, s[2:3] offset:24 glc
	s_waitcnt vmcnt(0)
	buffer_wbinvl1_vol
	global_load_dwordx2 v[3:4], v2, s[2:3] offset:40
	global_load_dwordx2 v[9:10], v2, s[2:3]
	s_waitcnt vmcnt(1)
	v_and_b32_e32 v1, v3, v31
	v_and_b32_e32 v3, v4, v32
	v_mul_lo_u32 v3, v3, 24
	v_mul_hi_u32 v4, v1, 24
	v_mul_lo_u32 v1, v1, 24
	v_add_u32_e32 v4, v4, v3
	s_waitcnt vmcnt(0)
	v_add_co_u32_e32 v3, vcc, v9, v1
	v_addc_co_u32_e32 v4, vcc, v10, v4, vcc
	global_load_dwordx2 v[29:30], v[3:4], off glc
	s_waitcnt vmcnt(0)
	global_atomic_cmpswap_x2 v[3:4], v2, v[29:32], s[2:3] offset:24 glc
	s_waitcnt vmcnt(0)
	buffer_wbinvl1_vol
	v_cmp_ne_u64_e32 vcc, v[3:4], v[31:32]
	s_and_saveexec_b64 s[22:23], vcc
	s_cbranch_execz .LBB4_1019
; %bb.1016:                             ;   in Loop: Header=BB4_958 Depth=2
	s_mov_b64 s[24:25], 0
.LBB4_1017:                             ;   Parent Loop BB4_3 Depth=1
                                        ;     Parent Loop BB4_958 Depth=2
                                        ; =>    This Inner Loop Header: Depth=3
	s_sleep 1
	global_load_dwordx2 v[9:10], v2, s[2:3] offset:40
	global_load_dwordx2 v[29:30], v2, s[2:3]
	v_mov_b32_e32 v32, v4
	v_mov_b32_e32 v31, v3
	s_waitcnt vmcnt(1)
	v_and_b32_e32 v1, v9, v31
	s_waitcnt vmcnt(0)
	v_mad_u64_u32 v[3:4], s[26:27], v1, 24, v[29:30]
	v_and_b32_e32 v9, v10, v32
	v_mov_b32_e32 v1, v4
	v_mad_u64_u32 v[9:10], s[26:27], v9, 24, v[1:2]
	v_mov_b32_e32 v4, v9
	global_load_dwordx2 v[29:30], v[3:4], off glc
	s_waitcnt vmcnt(0)
	global_atomic_cmpswap_x2 v[3:4], v2, v[29:32], s[2:3] offset:24 glc
	s_waitcnt vmcnt(0)
	buffer_wbinvl1_vol
	v_cmp_eq_u64_e32 vcc, v[3:4], v[31:32]
	s_or_b64 s[24:25], vcc, s[24:25]
	s_andn2_b64 exec, exec, s[24:25]
	s_cbranch_execnz .LBB4_1017
; %bb.1018:                             ;   in Loop: Header=BB4_958 Depth=2
	s_or_b64 exec, exec, s[24:25]
.LBB4_1019:                             ;   in Loop: Header=BB4_958 Depth=2
	s_or_b64 exec, exec, s[22:23]
.LBB4_1020:                             ;   in Loop: Header=BB4_958 Depth=2
	s_or_b64 exec, exec, s[20:21]
	global_load_dwordx2 v[9:10], v2, s[2:3] offset:40
	global_load_dwordx4 v[29:32], v2, s[2:3]
	v_readfirstlane_b32 s21, v4
	v_readfirstlane_b32 s20, v3
	s_mov_b64 s[22:23], exec
	s_waitcnt vmcnt(1)
	v_readfirstlane_b32 s24, v9
	v_readfirstlane_b32 s25, v10
	s_and_b64 s[24:25], s[24:25], s[20:21]
	s_mul_i32 s26, s25, 24
	s_mul_hi_u32 s27, s24, 24
	s_mul_i32 s33, s24, 24
	s_add_i32 s26, s27, s26
	v_mov_b32_e32 v1, s26
	s_waitcnt vmcnt(0)
	v_add_co_u32_e32 v9, vcc, s33, v29
	v_addc_co_u32_e32 v10, vcc, v30, v1, vcc
	s_and_saveexec_b64 s[26:27], s[0:1]
	s_cbranch_execz .LBB4_1022
; %bb.1021:                             ;   in Loop: Header=BB4_958 Depth=2
	v_mov_b32_e32 v3, s22
	v_mov_b32_e32 v4, s23
	global_store_dwordx4 v[9:10], v[3:6], off offset:8
.LBB4_1022:                             ;   in Loop: Header=BB4_958 Depth=2
	s_or_b64 exec, exec, s[26:27]
	s_lshl_b64 s[22:23], s[24:25], 12
	v_mov_b32_e32 v1, s23
	v_add_co_u32_e32 v11, vcc, s22, v31
	v_addc_co_u32_e32 v31, vcc, v32, v1, vcc
	v_cmp_lt_u64_e64 vcc, s[16:17], 57
	v_and_b32_e32 v1, 2, v7
	s_lshl_b32 s22, s18, 2
	v_cndmask_b32_e32 v1, 0, v1, vcc
	s_add_i32 s22, s22, 28
	v_and_b32_e32 v3, 0xffffff1f, v13
	s_and_b32 s22, s22, 0x1e0
	v_or_b32_e32 v1, v3, v1
	v_or_b32_e32 v13, s22, v1
	v_readfirstlane_b32 s22, v11
	v_readfirstlane_b32 s23, v31
	s_nop 4
	global_store_dwordx4 v43, v[13:16], s[22:23]
	global_store_dwordx4 v43, v[17:20], s[22:23] offset:16
	global_store_dwordx4 v43, v[21:24], s[22:23] offset:32
	;; [unrolled: 1-line block ×3, first 2 shown]
	s_and_saveexec_b64 s[22:23], s[0:1]
	s_cbranch_execz .LBB4_1030
; %bb.1023:                             ;   in Loop: Header=BB4_958 Depth=2
	global_load_dwordx2 v[17:18], v2, s[2:3] offset:32 glc
	global_load_dwordx2 v[3:4], v2, s[2:3] offset:40
	v_mov_b32_e32 v15, s20
	v_mov_b32_e32 v16, s21
	s_waitcnt vmcnt(0)
	v_readfirstlane_b32 s24, v3
	v_readfirstlane_b32 s25, v4
	s_and_b64 s[24:25], s[24:25], s[20:21]
	s_mul_i32 s25, s25, 24
	s_mul_hi_u32 s26, s24, 24
	s_mul_i32 s24, s24, 24
	s_add_i32 s25, s26, s25
	v_mov_b32_e32 v1, s25
	v_add_co_u32_e32 v3, vcc, s24, v29
	v_addc_co_u32_e32 v4, vcc, v30, v1, vcc
	global_store_dwordx2 v[3:4], v[17:18], off
	s_waitcnt vmcnt(0)
	global_atomic_cmpswap_x2 v[15:16], v2, v[15:18], s[2:3] offset:32 glc
	s_waitcnt vmcnt(0)
	v_cmp_ne_u64_e32 vcc, v[15:16], v[17:18]
	s_and_saveexec_b64 s[24:25], vcc
	s_cbranch_execz .LBB4_1026
; %bb.1024:                             ;   in Loop: Header=BB4_958 Depth=2
	s_mov_b64 s[26:27], 0
.LBB4_1025:                             ;   Parent Loop BB4_3 Depth=1
                                        ;     Parent Loop BB4_958 Depth=2
                                        ; =>    This Inner Loop Header: Depth=3
	s_sleep 1
	global_store_dwordx2 v[3:4], v[15:16], off
	v_mov_b32_e32 v13, s20
	v_mov_b32_e32 v14, s21
	s_waitcnt vmcnt(0)
	global_atomic_cmpswap_x2 v[13:14], v2, v[13:16], s[2:3] offset:32 glc
	s_waitcnt vmcnt(0)
	v_cmp_eq_u64_e32 vcc, v[13:14], v[15:16]
	v_mov_b32_e32 v16, v14
	s_or_b64 s[26:27], vcc, s[26:27]
	v_mov_b32_e32 v15, v13
	s_andn2_b64 exec, exec, s[26:27]
	s_cbranch_execnz .LBB4_1025
.LBB4_1026:                             ;   in Loop: Header=BB4_958 Depth=2
	s_or_b64 exec, exec, s[24:25]
	global_load_dwordx2 v[3:4], v2, s[2:3] offset:16
	s_mov_b64 s[26:27], exec
	v_mbcnt_lo_u32_b32 v1, s26, 0
	v_mbcnt_hi_u32_b32 v1, s27, v1
	v_cmp_eq_u32_e32 vcc, 0, v1
	s_and_saveexec_b64 s[24:25], vcc
	s_cbranch_execz .LBB4_1028
; %bb.1027:                             ;   in Loop: Header=BB4_958 Depth=2
	s_bcnt1_i32_b64 s26, s[26:27]
	v_mov_b32_e32 v1, s26
	s_waitcnt vmcnt(0)
	global_atomic_add_x2 v[3:4], v[1:2], off offset:8
.LBB4_1028:                             ;   in Loop: Header=BB4_958 Depth=2
	s_or_b64 exec, exec, s[24:25]
	s_waitcnt vmcnt(0)
	global_load_dwordx2 v[13:14], v[3:4], off offset:16
	s_waitcnt vmcnt(0)
	v_cmp_eq_u64_e32 vcc, 0, v[13:14]
	s_cbranch_vccnz .LBB4_1030
; %bb.1029:                             ;   in Loop: Header=BB4_958 Depth=2
	global_load_dword v1, v[3:4], off offset:24
	s_waitcnt vmcnt(0)
	v_readfirstlane_b32 s24, v1
	s_and_b32 m0, s24, 0xffffff
	global_store_dwordx2 v[13:14], v[1:2], off
	s_sendmsg sendmsg(MSG_INTERRUPT)
.LBB4_1030:                             ;   in Loop: Header=BB4_958 Depth=2
	s_or_b64 exec, exec, s[22:23]
	v_add_co_u32_e32 v3, vcc, v11, v43
	v_addc_co_u32_e32 v4, vcc, 0, v31, vcc
	s_branch .LBB4_1034
.LBB4_1031:                             ;   in Loop: Header=BB4_1034 Depth=3
	s_or_b64 exec, exec, s[22:23]
	v_readfirstlane_b32 s22, v1
	s_cmp_eq_u32 s22, 0
	s_cbranch_scc1 .LBB4_1033
; %bb.1032:                             ;   in Loop: Header=BB4_1034 Depth=3
	s_sleep 1
	s_cbranch_execnz .LBB4_1034
	s_branch .LBB4_1036
.LBB4_1033:                             ;   in Loop: Header=BB4_958 Depth=2
	s_branch .LBB4_1036
.LBB4_1034:                             ;   Parent Loop BB4_3 Depth=1
                                        ;     Parent Loop BB4_958 Depth=2
                                        ; =>    This Inner Loop Header: Depth=3
	v_mov_b32_e32 v1, 1
	s_and_saveexec_b64 s[22:23], s[0:1]
	s_cbranch_execz .LBB4_1031
; %bb.1035:                             ;   in Loop: Header=BB4_1034 Depth=3
	global_load_dword v1, v[9:10], off offset:20 glc
	s_waitcnt vmcnt(0)
	buffer_wbinvl1_vol
	v_and_b32_e32 v1, 1, v1
	s_branch .LBB4_1031
.LBB4_1036:                             ;   in Loop: Header=BB4_958 Depth=2
	global_load_dwordx2 v[13:14], v[3:4], off
	s_and_saveexec_b64 s[22:23], s[0:1]
	s_cbranch_execz .LBB4_957
; %bb.1037:                             ;   in Loop: Header=BB4_958 Depth=2
	global_load_dwordx2 v[3:4], v2, s[2:3] offset:40
	global_load_dwordx2 v[19:20], v2, s[2:3] offset:24 glc
	global_load_dwordx2 v[9:10], v2, s[2:3]
	s_waitcnt vmcnt(2)
	v_readfirstlane_b32 s24, v3
	v_readfirstlane_b32 s25, v4
	s_add_u32 s26, s24, 1
	s_addc_u32 s27, s25, 0
	s_add_u32 s0, s26, s20
	s_addc_u32 s1, s27, s21
	s_cmp_eq_u64 s[0:1], 0
	s_cselect_b32 s1, s27, s1
	s_cselect_b32 s0, s26, s0
	s_and_b64 s[20:21], s[0:1], s[24:25]
	s_mul_i32 s21, s21, 24
	s_mul_hi_u32 s24, s20, 24
	s_mul_i32 s20, s20, 24
	s_add_i32 s21, s24, s21
	v_mov_b32_e32 v1, s21
	s_waitcnt vmcnt(0)
	v_add_co_u32_e32 v3, vcc, s20, v9
	v_addc_co_u32_e32 v4, vcc, v10, v1, vcc
	v_mov_b32_e32 v17, s0
	global_store_dwordx2 v[3:4], v[19:20], off
	v_mov_b32_e32 v18, s1
	s_waitcnt vmcnt(0)
	global_atomic_cmpswap_x2 v[17:18], v2, v[17:20], s[2:3] offset:24 glc
	s_waitcnt vmcnt(0)
	v_cmp_ne_u64_e32 vcc, v[17:18], v[19:20]
	s_and_b64 exec, exec, vcc
	s_cbranch_execz .LBB4_957
; %bb.1038:                             ;   in Loop: Header=BB4_958 Depth=2
	s_mov_b64 s[20:21], 0
.LBB4_1039:                             ;   Parent Loop BB4_3 Depth=1
                                        ;     Parent Loop BB4_958 Depth=2
                                        ; =>    This Inner Loop Header: Depth=3
	s_sleep 1
	global_store_dwordx2 v[3:4], v[17:18], off
	v_mov_b32_e32 v15, s0
	v_mov_b32_e32 v16, s1
	s_waitcnt vmcnt(0)
	global_atomic_cmpswap_x2 v[9:10], v2, v[15:18], s[2:3] offset:24 glc
	s_waitcnt vmcnt(0)
	v_cmp_eq_u64_e32 vcc, v[9:10], v[17:18]
	v_mov_b32_e32 v18, v10
	s_or_b64 s[20:21], vcc, s[20:21]
	v_mov_b32_e32 v17, v9
	s_andn2_b64 exec, exec, s[20:21]
	s_cbranch_execnz .LBB4_1039
	s_branch .LBB4_957
.LBB4_1040:                             ;   in Loop: Header=BB4_3 Depth=1
	s_branch .LBB4_1097
.LBB4_1041:                             ;   in Loop: Header=BB4_3 Depth=1
                                        ; implicit-def: $vgpr7_vgpr8
	s_cbranch_execz .LBB4_955
; %bb.1042:                             ;   in Loop: Header=BB4_3 Depth=1
	v_readfirstlane_b32 s0, v40
	v_mov_b32_e32 v3, 0
	v_mov_b32_e32 v4, 0
	v_cmp_eq_u32_e64 s[0:1], s0, v40
	s_and_saveexec_b64 s[14:15], s[0:1]
	s_cbranch_execz .LBB4_1048
; %bb.1043:                             ;   in Loop: Header=BB4_3 Depth=1
	global_load_dwordx2 v[9:10], v2, s[2:3] offset:24 glc
	s_waitcnt vmcnt(0)
	buffer_wbinvl1_vol
	global_load_dwordx2 v[3:4], v2, s[2:3] offset:40
	global_load_dwordx2 v[7:8], v2, s[2:3]
	s_waitcnt vmcnt(1)
	v_and_b32_e32 v1, v3, v9
	v_and_b32_e32 v3, v4, v10
	v_mul_lo_u32 v3, v3, 24
	v_mul_hi_u32 v4, v1, 24
	v_mul_lo_u32 v1, v1, 24
	v_add_u32_e32 v4, v4, v3
	s_waitcnt vmcnt(0)
	v_add_co_u32_e32 v3, vcc, v7, v1
	v_addc_co_u32_e32 v4, vcc, v8, v4, vcc
	global_load_dwordx2 v[7:8], v[3:4], off glc
	s_waitcnt vmcnt(0)
	global_atomic_cmpswap_x2 v[3:4], v2, v[7:10], s[2:3] offset:24 glc
	s_waitcnt vmcnt(0)
	buffer_wbinvl1_vol
	v_cmp_ne_u64_e32 vcc, v[3:4], v[9:10]
	s_and_saveexec_b64 s[16:17], vcc
	s_cbranch_execz .LBB4_1047
; %bb.1044:                             ;   in Loop: Header=BB4_3 Depth=1
	s_mov_b64 s[18:19], 0
.LBB4_1045:                             ;   Parent Loop BB4_3 Depth=1
                                        ; =>  This Inner Loop Header: Depth=2
	s_sleep 1
	global_load_dwordx2 v[7:8], v2, s[2:3] offset:40
	global_load_dwordx2 v[15:16], v2, s[2:3]
	v_mov_b32_e32 v10, v4
	v_mov_b32_e32 v9, v3
	s_waitcnt vmcnt(1)
	v_and_b32_e32 v1, v7, v9
	s_waitcnt vmcnt(0)
	v_mad_u64_u32 v[3:4], s[20:21], v1, 24, v[15:16]
	v_and_b32_e32 v7, v8, v10
	v_mov_b32_e32 v1, v4
	v_mad_u64_u32 v[7:8], s[20:21], v7, 24, v[1:2]
	v_mov_b32_e32 v4, v7
	global_load_dwordx2 v[7:8], v[3:4], off glc
	s_waitcnt vmcnt(0)
	global_atomic_cmpswap_x2 v[3:4], v2, v[7:10], s[2:3] offset:24 glc
	s_waitcnt vmcnt(0)
	buffer_wbinvl1_vol
	v_cmp_eq_u64_e32 vcc, v[3:4], v[9:10]
	s_or_b64 s[18:19], vcc, s[18:19]
	s_andn2_b64 exec, exec, s[18:19]
	s_cbranch_execnz .LBB4_1045
; %bb.1046:                             ;   in Loop: Header=BB4_3 Depth=1
	s_or_b64 exec, exec, s[18:19]
.LBB4_1047:                             ;   in Loop: Header=BB4_3 Depth=1
	s_or_b64 exec, exec, s[16:17]
.LBB4_1048:                             ;   in Loop: Header=BB4_3 Depth=1
	s_or_b64 exec, exec, s[14:15]
	global_load_dwordx2 v[15:16], v2, s[2:3] offset:40
	global_load_dwordx4 v[7:10], v2, s[2:3]
	v_readfirstlane_b32 s15, v4
	v_readfirstlane_b32 s14, v3
	s_mov_b64 s[16:17], exec
	s_waitcnt vmcnt(1)
	v_readfirstlane_b32 s18, v15
	v_readfirstlane_b32 s19, v16
	s_and_b64 s[18:19], s[18:19], s[14:15]
	s_mul_i32 s20, s19, 24
	s_mul_hi_u32 s21, s18, 24
	s_mul_i32 s22, s18, 24
	s_add_i32 s20, s21, s20
	v_mov_b32_e32 v1, s20
	s_waitcnt vmcnt(0)
	v_add_co_u32_e32 v17, vcc, s22, v7
	v_addc_co_u32_e32 v18, vcc, v8, v1, vcc
	s_and_saveexec_b64 s[20:21], s[0:1]
	s_cbranch_execz .LBB4_1050
; %bb.1049:                             ;   in Loop: Header=BB4_3 Depth=1
	v_mov_b32_e32 v3, s16
	v_mov_b32_e32 v4, s17
	global_store_dwordx4 v[17:18], v[3:6], off offset:8
.LBB4_1050:                             ;   in Loop: Header=BB4_3 Depth=1
	s_or_b64 exec, exec, s[20:21]
	s_lshl_b64 s[16:17], s[18:19], 12
	v_mov_b32_e32 v1, s17
	v_add_co_u32_e32 v11, vcc, s16, v9
	v_addc_co_u32_e32 v19, vcc, v10, v1, vcc
	v_and_or_b32 v13, v13, s29, 32
	v_mov_b32_e32 v15, v2
	v_mov_b32_e32 v16, v2
	v_readfirstlane_b32 s16, v11
	v_readfirstlane_b32 s17, v19
	s_nop 4
	global_store_dwordx4 v43, v[13:16], s[16:17]
	s_nop 0
	v_mov_b32_e32 v16, s11
	v_mov_b32_e32 v15, s10
	;; [unrolled: 1-line block ×4, first 2 shown]
	global_store_dwordx4 v43, v[13:16], s[16:17] offset:16
	global_store_dwordx4 v43, v[13:16], s[16:17] offset:32
	global_store_dwordx4 v43, v[13:16], s[16:17] offset:48
	s_and_saveexec_b64 s[16:17], s[0:1]
	s_cbranch_execz .LBB4_1058
; %bb.1051:                             ;   in Loop: Header=BB4_3 Depth=1
	global_load_dwordx2 v[15:16], v2, s[2:3] offset:32 glc
	global_load_dwordx2 v[3:4], v2, s[2:3] offset:40
	v_mov_b32_e32 v13, s14
	v_mov_b32_e32 v14, s15
	s_waitcnt vmcnt(0)
	v_readfirstlane_b32 s18, v3
	v_readfirstlane_b32 s19, v4
	s_and_b64 s[18:19], s[18:19], s[14:15]
	s_mul_i32 s19, s19, 24
	s_mul_hi_u32 s20, s18, 24
	s_mul_i32 s18, s18, 24
	s_add_i32 s19, s20, s19
	v_mov_b32_e32 v1, s19
	v_add_co_u32_e32 v3, vcc, s18, v7
	v_addc_co_u32_e32 v4, vcc, v8, v1, vcc
	global_store_dwordx2 v[3:4], v[15:16], off
	s_waitcnt vmcnt(0)
	global_atomic_cmpswap_x2 v[9:10], v2, v[13:16], s[2:3] offset:32 glc
	s_waitcnt vmcnt(0)
	v_cmp_ne_u64_e32 vcc, v[9:10], v[15:16]
	s_and_saveexec_b64 s[18:19], vcc
	s_cbranch_execz .LBB4_1054
; %bb.1052:                             ;   in Loop: Header=BB4_3 Depth=1
	s_mov_b64 s[20:21], 0
.LBB4_1053:                             ;   Parent Loop BB4_3 Depth=1
                                        ; =>  This Inner Loop Header: Depth=2
	s_sleep 1
	global_store_dwordx2 v[3:4], v[9:10], off
	v_mov_b32_e32 v7, s14
	v_mov_b32_e32 v8, s15
	s_waitcnt vmcnt(0)
	global_atomic_cmpswap_x2 v[7:8], v2, v[7:10], s[2:3] offset:32 glc
	s_waitcnt vmcnt(0)
	v_cmp_eq_u64_e32 vcc, v[7:8], v[9:10]
	v_mov_b32_e32 v10, v8
	s_or_b64 s[20:21], vcc, s[20:21]
	v_mov_b32_e32 v9, v7
	s_andn2_b64 exec, exec, s[20:21]
	s_cbranch_execnz .LBB4_1053
.LBB4_1054:                             ;   in Loop: Header=BB4_3 Depth=1
	s_or_b64 exec, exec, s[18:19]
	global_load_dwordx2 v[3:4], v2, s[2:3] offset:16
	s_mov_b64 s[20:21], exec
	v_mbcnt_lo_u32_b32 v1, s20, 0
	v_mbcnt_hi_u32_b32 v1, s21, v1
	v_cmp_eq_u32_e32 vcc, 0, v1
	s_and_saveexec_b64 s[18:19], vcc
	s_cbranch_execz .LBB4_1056
; %bb.1055:                             ;   in Loop: Header=BB4_3 Depth=1
	s_bcnt1_i32_b64 s20, s[20:21]
	v_mov_b32_e32 v1, s20
	s_waitcnt vmcnt(0)
	global_atomic_add_x2 v[3:4], v[1:2], off offset:8
.LBB4_1056:                             ;   in Loop: Header=BB4_3 Depth=1
	s_or_b64 exec, exec, s[18:19]
	s_waitcnt vmcnt(0)
	global_load_dwordx2 v[7:8], v[3:4], off offset:16
	s_waitcnt vmcnt(0)
	v_cmp_eq_u64_e32 vcc, 0, v[7:8]
	s_cbranch_vccnz .LBB4_1058
; %bb.1057:                             ;   in Loop: Header=BB4_3 Depth=1
	global_load_dword v1, v[3:4], off offset:24
	s_waitcnt vmcnt(0)
	v_readfirstlane_b32 s18, v1
	s_and_b32 m0, s18, 0xffffff
	global_store_dwordx2 v[7:8], v[1:2], off
	s_sendmsg sendmsg(MSG_INTERRUPT)
.LBB4_1058:                             ;   in Loop: Header=BB4_3 Depth=1
	s_or_b64 exec, exec, s[16:17]
	v_add_co_u32_e32 v3, vcc, v11, v43
	v_addc_co_u32_e32 v4, vcc, 0, v19, vcc
	s_branch .LBB4_1062
.LBB4_1059:                             ;   in Loop: Header=BB4_1062 Depth=2
	s_or_b64 exec, exec, s[16:17]
	v_readfirstlane_b32 s16, v1
	s_cmp_eq_u32 s16, 0
	s_cbranch_scc1 .LBB4_1061
; %bb.1060:                             ;   in Loop: Header=BB4_1062 Depth=2
	s_sleep 1
	s_cbranch_execnz .LBB4_1062
	s_branch .LBB4_1064
.LBB4_1061:                             ;   in Loop: Header=BB4_3 Depth=1
	s_branch .LBB4_1064
.LBB4_1062:                             ;   Parent Loop BB4_3 Depth=1
                                        ; =>  This Inner Loop Header: Depth=2
	v_mov_b32_e32 v1, 1
	s_and_saveexec_b64 s[16:17], s[0:1]
	s_cbranch_execz .LBB4_1059
; %bb.1063:                             ;   in Loop: Header=BB4_1062 Depth=2
	global_load_dword v1, v[17:18], off offset:20 glc
	s_waitcnt vmcnt(0)
	buffer_wbinvl1_vol
	v_and_b32_e32 v1, 1, v1
	s_branch .LBB4_1059
.LBB4_1064:                             ;   in Loop: Header=BB4_3 Depth=1
	global_load_dwordx2 v[7:8], v[3:4], off
	s_and_saveexec_b64 s[16:17], s[0:1]
	s_cbranch_execz .LBB4_1068
; %bb.1065:                             ;   in Loop: Header=BB4_3 Depth=1
	global_load_dwordx2 v[3:4], v2, s[2:3] offset:40
	global_load_dwordx2 v[17:18], v2, s[2:3] offset:24 glc
	global_load_dwordx2 v[9:10], v2, s[2:3]
	s_waitcnt vmcnt(2)
	v_readfirstlane_b32 s18, v3
	v_readfirstlane_b32 s19, v4
	s_add_u32 s20, s18, 1
	s_addc_u32 s21, s19, 0
	s_add_u32 s0, s20, s14
	s_addc_u32 s1, s21, s15
	s_cmp_eq_u64 s[0:1], 0
	s_cselect_b32 s1, s21, s1
	s_cselect_b32 s0, s20, s0
	s_and_b64 s[14:15], s[0:1], s[18:19]
	s_mul_i32 s15, s15, 24
	s_mul_hi_u32 s18, s14, 24
	s_mul_i32 s14, s14, 24
	s_add_i32 s15, s18, s15
	v_mov_b32_e32 v1, s15
	s_waitcnt vmcnt(0)
	v_add_co_u32_e32 v3, vcc, s14, v9
	v_addc_co_u32_e32 v4, vcc, v10, v1, vcc
	v_mov_b32_e32 v15, s0
	global_store_dwordx2 v[3:4], v[17:18], off
	v_mov_b32_e32 v16, s1
	s_waitcnt vmcnt(0)
	global_atomic_cmpswap_x2 v[15:16], v2, v[15:18], s[2:3] offset:24 glc
	s_waitcnt vmcnt(0)
	v_cmp_ne_u64_e32 vcc, v[15:16], v[17:18]
	s_and_b64 exec, exec, vcc
	s_cbranch_execz .LBB4_1068
; %bb.1066:                             ;   in Loop: Header=BB4_3 Depth=1
	s_mov_b64 s[14:15], 0
.LBB4_1067:                             ;   Parent Loop BB4_3 Depth=1
                                        ; =>  This Inner Loop Header: Depth=2
	s_sleep 1
	global_store_dwordx2 v[3:4], v[15:16], off
	v_mov_b32_e32 v13, s0
	v_mov_b32_e32 v14, s1
	s_waitcnt vmcnt(0)
	global_atomic_cmpswap_x2 v[9:10], v2, v[13:16], s[2:3] offset:24 glc
	s_waitcnt vmcnt(0)
	v_cmp_eq_u64_e32 vcc, v[9:10], v[15:16]
	v_mov_b32_e32 v16, v10
	s_or_b64 s[14:15], vcc, s[14:15]
	v_mov_b32_e32 v15, v9
	s_andn2_b64 exec, exec, s[14:15]
	s_cbranch_execnz .LBB4_1067
.LBB4_1068:                             ;   in Loop: Header=BB4_3 Depth=1
	s_or_b64 exec, exec, s[16:17]
	s_and_b64 vcc, exec, s[12:13]
	s_cbranch_vccnz .LBB4_956
.LBB4_1069:                             ;   in Loop: Header=BB4_3 Depth=1
                                        ; implicit-def: $vgpr13_vgpr14
	s_cbranch_execz .LBB4_1097
; %bb.1070:                             ;   in Loop: Header=BB4_3 Depth=1
	v_readfirstlane_b32 s0, v40
	v_mov_b32_e32 v3, 0
	v_mov_b32_e32 v4, 0
	v_cmp_eq_u32_e64 s[0:1], s0, v40
	s_and_saveexec_b64 s[14:15], s[0:1]
	s_cbranch_execz .LBB4_1076
; %bb.1071:                             ;   in Loop: Header=BB4_3 Depth=1
	global_load_dwordx2 v[15:16], v2, s[2:3] offset:24 glc
	s_waitcnt vmcnt(0)
	buffer_wbinvl1_vol
	global_load_dwordx2 v[3:4], v2, s[2:3] offset:40
	global_load_dwordx2 v[9:10], v2, s[2:3]
	s_waitcnt vmcnt(1)
	v_and_b32_e32 v1, v3, v15
	v_and_b32_e32 v3, v4, v16
	v_mul_lo_u32 v3, v3, 24
	v_mul_hi_u32 v4, v1, 24
	v_mul_lo_u32 v1, v1, 24
	v_add_u32_e32 v4, v4, v3
	s_waitcnt vmcnt(0)
	v_add_co_u32_e32 v3, vcc, v9, v1
	v_addc_co_u32_e32 v4, vcc, v10, v4, vcc
	global_load_dwordx2 v[13:14], v[3:4], off glc
	s_waitcnt vmcnt(0)
	global_atomic_cmpswap_x2 v[3:4], v2, v[13:16], s[2:3] offset:24 glc
	s_waitcnt vmcnt(0)
	buffer_wbinvl1_vol
	v_cmp_ne_u64_e32 vcc, v[3:4], v[15:16]
	s_and_saveexec_b64 s[16:17], vcc
	s_cbranch_execz .LBB4_1075
; %bb.1072:                             ;   in Loop: Header=BB4_3 Depth=1
	s_mov_b64 s[18:19], 0
.LBB4_1073:                             ;   Parent Loop BB4_3 Depth=1
                                        ; =>  This Inner Loop Header: Depth=2
	s_sleep 1
	global_load_dwordx2 v[9:10], v2, s[2:3] offset:40
	global_load_dwordx2 v[13:14], v2, s[2:3]
	v_mov_b32_e32 v16, v4
	v_mov_b32_e32 v15, v3
	s_waitcnt vmcnt(1)
	v_and_b32_e32 v1, v9, v15
	s_waitcnt vmcnt(0)
	v_mad_u64_u32 v[3:4], s[20:21], v1, 24, v[13:14]
	v_and_b32_e32 v9, v10, v16
	v_mov_b32_e32 v1, v4
	v_mad_u64_u32 v[9:10], s[20:21], v9, 24, v[1:2]
	v_mov_b32_e32 v4, v9
	global_load_dwordx2 v[13:14], v[3:4], off glc
	s_waitcnt vmcnt(0)
	global_atomic_cmpswap_x2 v[3:4], v2, v[13:16], s[2:3] offset:24 glc
	s_waitcnt vmcnt(0)
	buffer_wbinvl1_vol
	v_cmp_eq_u64_e32 vcc, v[3:4], v[15:16]
	s_or_b64 s[18:19], vcc, s[18:19]
	s_andn2_b64 exec, exec, s[18:19]
	s_cbranch_execnz .LBB4_1073
; %bb.1074:                             ;   in Loop: Header=BB4_3 Depth=1
	s_or_b64 exec, exec, s[18:19]
.LBB4_1075:                             ;   in Loop: Header=BB4_3 Depth=1
	s_or_b64 exec, exec, s[16:17]
.LBB4_1076:                             ;   in Loop: Header=BB4_3 Depth=1
	s_or_b64 exec, exec, s[14:15]
	global_load_dwordx2 v[9:10], v2, s[2:3] offset:40
	global_load_dwordx4 v[13:16], v2, s[2:3]
	v_readfirstlane_b32 s15, v4
	v_readfirstlane_b32 s14, v3
	s_mov_b64 s[16:17], exec
	s_waitcnt vmcnt(1)
	v_readfirstlane_b32 s18, v9
	v_readfirstlane_b32 s19, v10
	s_and_b64 s[18:19], s[18:19], s[14:15]
	s_mul_i32 s20, s19, 24
	s_mul_hi_u32 s21, s18, 24
	s_mul_i32 s22, s18, 24
	s_add_i32 s20, s21, s20
	v_mov_b32_e32 v1, s20
	s_waitcnt vmcnt(0)
	v_add_co_u32_e32 v17, vcc, s22, v13
	v_addc_co_u32_e32 v18, vcc, v14, v1, vcc
	s_and_saveexec_b64 s[20:21], s[0:1]
	s_cbranch_execz .LBB4_1078
; %bb.1077:                             ;   in Loop: Header=BB4_3 Depth=1
	v_mov_b32_e32 v3, s16
	v_mov_b32_e32 v4, s17
	global_store_dwordx4 v[17:18], v[3:6], off offset:8
.LBB4_1078:                             ;   in Loop: Header=BB4_3 Depth=1
	s_or_b64 exec, exec, s[20:21]
	s_lshl_b64 s[16:17], s[18:19], 12
	v_mov_b32_e32 v1, s17
	v_add_co_u32_e32 v11, vcc, s16, v15
	v_addc_co_u32_e32 v15, vcc, v16, v1, vcc
	v_and_or_b32 v7, v7, s29, 32
	v_mov_b32_e32 v9, v2
	v_mov_b32_e32 v10, v2
	v_readfirstlane_b32 s16, v11
	v_readfirstlane_b32 s17, v15
	s_nop 4
	global_store_dwordx4 v43, v[7:10], s[16:17]
	s_nop 0
	v_mov_b32_e32 v7, s8
	v_mov_b32_e32 v8, s9
	;; [unrolled: 1-line block ×4, first 2 shown]
	global_store_dwordx4 v43, v[7:10], s[16:17] offset:16
	global_store_dwordx4 v43, v[7:10], s[16:17] offset:32
	;; [unrolled: 1-line block ×3, first 2 shown]
	s_and_saveexec_b64 s[16:17], s[0:1]
	s_cbranch_execz .LBB4_1086
; %bb.1079:                             ;   in Loop: Header=BB4_3 Depth=1
	global_load_dwordx2 v[21:22], v2, s[2:3] offset:32 glc
	global_load_dwordx2 v[3:4], v2, s[2:3] offset:40
	v_mov_b32_e32 v19, s14
	v_mov_b32_e32 v20, s15
	s_waitcnt vmcnt(0)
	v_readfirstlane_b32 s18, v3
	v_readfirstlane_b32 s19, v4
	s_and_b64 s[18:19], s[18:19], s[14:15]
	s_mul_i32 s19, s19, 24
	s_mul_hi_u32 s20, s18, 24
	s_mul_i32 s18, s18, 24
	s_add_i32 s19, s20, s19
	v_mov_b32_e32 v1, s19
	v_add_co_u32_e32 v3, vcc, s18, v13
	v_addc_co_u32_e32 v4, vcc, v14, v1, vcc
	global_store_dwordx2 v[3:4], v[21:22], off
	s_waitcnt vmcnt(0)
	global_atomic_cmpswap_x2 v[9:10], v2, v[19:22], s[2:3] offset:32 glc
	s_waitcnt vmcnt(0)
	v_cmp_ne_u64_e32 vcc, v[9:10], v[21:22]
	s_and_saveexec_b64 s[18:19], vcc
	s_cbranch_execz .LBB4_1082
; %bb.1080:                             ;   in Loop: Header=BB4_3 Depth=1
	s_mov_b64 s[20:21], 0
.LBB4_1081:                             ;   Parent Loop BB4_3 Depth=1
                                        ; =>  This Inner Loop Header: Depth=2
	s_sleep 1
	global_store_dwordx2 v[3:4], v[9:10], off
	v_mov_b32_e32 v7, s14
	v_mov_b32_e32 v8, s15
	s_waitcnt vmcnt(0)
	global_atomic_cmpswap_x2 v[7:8], v2, v[7:10], s[2:3] offset:32 glc
	s_waitcnt vmcnt(0)
	v_cmp_eq_u64_e32 vcc, v[7:8], v[9:10]
	v_mov_b32_e32 v10, v8
	s_or_b64 s[20:21], vcc, s[20:21]
	v_mov_b32_e32 v9, v7
	s_andn2_b64 exec, exec, s[20:21]
	s_cbranch_execnz .LBB4_1081
.LBB4_1082:                             ;   in Loop: Header=BB4_3 Depth=1
	s_or_b64 exec, exec, s[18:19]
	global_load_dwordx2 v[3:4], v2, s[2:3] offset:16
	s_mov_b64 s[20:21], exec
	v_mbcnt_lo_u32_b32 v1, s20, 0
	v_mbcnt_hi_u32_b32 v1, s21, v1
	v_cmp_eq_u32_e32 vcc, 0, v1
	s_and_saveexec_b64 s[18:19], vcc
	s_cbranch_execz .LBB4_1084
; %bb.1083:                             ;   in Loop: Header=BB4_3 Depth=1
	s_bcnt1_i32_b64 s20, s[20:21]
	v_mov_b32_e32 v1, s20
	s_waitcnt vmcnt(0)
	global_atomic_add_x2 v[3:4], v[1:2], off offset:8
.LBB4_1084:                             ;   in Loop: Header=BB4_3 Depth=1
	s_or_b64 exec, exec, s[18:19]
	s_waitcnt vmcnt(0)
	global_load_dwordx2 v[7:8], v[3:4], off offset:16
	s_waitcnt vmcnt(0)
	v_cmp_eq_u64_e32 vcc, 0, v[7:8]
	s_cbranch_vccnz .LBB4_1086
; %bb.1085:                             ;   in Loop: Header=BB4_3 Depth=1
	global_load_dword v1, v[3:4], off offset:24
	s_waitcnt vmcnt(0)
	v_readfirstlane_b32 s18, v1
	s_and_b32 m0, s18, 0xffffff
	global_store_dwordx2 v[7:8], v[1:2], off
	s_sendmsg sendmsg(MSG_INTERRUPT)
.LBB4_1086:                             ;   in Loop: Header=BB4_3 Depth=1
	s_or_b64 exec, exec, s[16:17]
	v_add_co_u32_e32 v3, vcc, v11, v43
	v_addc_co_u32_e32 v4, vcc, 0, v15, vcc
	s_branch .LBB4_1090
.LBB4_1087:                             ;   in Loop: Header=BB4_1090 Depth=2
	s_or_b64 exec, exec, s[16:17]
	v_readfirstlane_b32 s16, v1
	s_cmp_eq_u32 s16, 0
	s_cbranch_scc1 .LBB4_1089
; %bb.1088:                             ;   in Loop: Header=BB4_1090 Depth=2
	s_sleep 1
	s_cbranch_execnz .LBB4_1090
	s_branch .LBB4_1092
.LBB4_1089:                             ;   in Loop: Header=BB4_3 Depth=1
	s_branch .LBB4_1092
.LBB4_1090:                             ;   Parent Loop BB4_3 Depth=1
                                        ; =>  This Inner Loop Header: Depth=2
	v_mov_b32_e32 v1, 1
	s_and_saveexec_b64 s[16:17], s[0:1]
	s_cbranch_execz .LBB4_1087
; %bb.1091:                             ;   in Loop: Header=BB4_1090 Depth=2
	global_load_dword v1, v[17:18], off offset:20 glc
	s_waitcnt vmcnt(0)
	buffer_wbinvl1_vol
	v_and_b32_e32 v1, 1, v1
	s_branch .LBB4_1087
.LBB4_1092:                             ;   in Loop: Header=BB4_3 Depth=1
	global_load_dwordx2 v[13:14], v[3:4], off
	s_and_saveexec_b64 s[16:17], s[0:1]
	s_cbranch_execz .LBB4_1096
; %bb.1093:                             ;   in Loop: Header=BB4_3 Depth=1
	global_load_dwordx2 v[3:4], v2, s[2:3] offset:40
	global_load_dwordx2 v[17:18], v2, s[2:3] offset:24 glc
	global_load_dwordx2 v[7:8], v2, s[2:3]
	s_waitcnt vmcnt(2)
	v_readfirstlane_b32 s18, v3
	v_readfirstlane_b32 s19, v4
	s_add_u32 s20, s18, 1
	s_addc_u32 s21, s19, 0
	s_add_u32 s0, s20, s14
	s_addc_u32 s1, s21, s15
	s_cmp_eq_u64 s[0:1], 0
	s_cselect_b32 s1, s21, s1
	s_cselect_b32 s0, s20, s0
	s_and_b64 s[14:15], s[0:1], s[18:19]
	s_mul_i32 s15, s15, 24
	s_mul_hi_u32 s18, s14, 24
	s_mul_i32 s14, s14, 24
	s_add_i32 s15, s18, s15
	v_mov_b32_e32 v1, s15
	s_waitcnt vmcnt(0)
	v_add_co_u32_e32 v3, vcc, s14, v7
	v_addc_co_u32_e32 v4, vcc, v8, v1, vcc
	v_mov_b32_e32 v15, s0
	global_store_dwordx2 v[3:4], v[17:18], off
	v_mov_b32_e32 v16, s1
	s_waitcnt vmcnt(0)
	global_atomic_cmpswap_x2 v[9:10], v2, v[15:18], s[2:3] offset:24 glc
	s_waitcnt vmcnt(0)
	v_cmp_ne_u64_e32 vcc, v[9:10], v[17:18]
	s_and_b64 exec, exec, vcc
	s_cbranch_execz .LBB4_1096
; %bb.1094:                             ;   in Loop: Header=BB4_3 Depth=1
	s_mov_b64 s[14:15], 0
.LBB4_1095:                             ;   Parent Loop BB4_3 Depth=1
                                        ; =>  This Inner Loop Header: Depth=2
	s_sleep 1
	global_store_dwordx2 v[3:4], v[9:10], off
	v_mov_b32_e32 v7, s0
	v_mov_b32_e32 v8, s1
	s_waitcnt vmcnt(0)
	global_atomic_cmpswap_x2 v[7:8], v2, v[7:10], s[2:3] offset:24 glc
	s_waitcnt vmcnt(0)
	v_cmp_eq_u64_e32 vcc, v[7:8], v[9:10]
	v_mov_b32_e32 v10, v8
	s_or_b64 s[14:15], vcc, s[14:15]
	v_mov_b32_e32 v9, v7
	s_andn2_b64 exec, exec, s[14:15]
	s_cbranch_execnz .LBB4_1095
.LBB4_1096:                             ;   in Loop: Header=BB4_3 Depth=1
	s_or_b64 exec, exec, s[16:17]
.LBB4_1097:                             ;   in Loop: Header=BB4_3 Depth=1
	v_readfirstlane_b32 s0, v40
	v_mov_b32_e32 v3, 0
	v_mov_b32_e32 v4, 0
	v_cmp_eq_u32_e64 s[0:1], s0, v40
	s_and_saveexec_b64 s[14:15], s[0:1]
	s_cbranch_execz .LBB4_1103
; %bb.1098:                             ;   in Loop: Header=BB4_3 Depth=1
	global_load_dwordx2 v[9:10], v2, s[2:3] offset:24 glc
	s_waitcnt vmcnt(0)
	buffer_wbinvl1_vol
	global_load_dwordx2 v[3:4], v2, s[2:3] offset:40
	global_load_dwordx2 v[7:8], v2, s[2:3]
	s_waitcnt vmcnt(1)
	v_and_b32_e32 v1, v3, v9
	v_and_b32_e32 v3, v4, v10
	v_mul_lo_u32 v3, v3, 24
	v_mul_hi_u32 v4, v1, 24
	v_mul_lo_u32 v1, v1, 24
	v_add_u32_e32 v4, v4, v3
	s_waitcnt vmcnt(0)
	v_add_co_u32_e32 v3, vcc, v7, v1
	v_addc_co_u32_e32 v4, vcc, v8, v4, vcc
	global_load_dwordx2 v[7:8], v[3:4], off glc
	s_waitcnt vmcnt(0)
	global_atomic_cmpswap_x2 v[3:4], v2, v[7:10], s[2:3] offset:24 glc
	s_waitcnt vmcnt(0)
	buffer_wbinvl1_vol
	v_cmp_ne_u64_e32 vcc, v[3:4], v[9:10]
	s_and_saveexec_b64 s[16:17], vcc
	s_cbranch_execz .LBB4_1102
; %bb.1099:                             ;   in Loop: Header=BB4_3 Depth=1
	s_mov_b64 s[18:19], 0
.LBB4_1100:                             ;   Parent Loop BB4_3 Depth=1
                                        ; =>  This Inner Loop Header: Depth=2
	s_sleep 1
	global_load_dwordx2 v[7:8], v2, s[2:3] offset:40
	global_load_dwordx2 v[15:16], v2, s[2:3]
	v_mov_b32_e32 v10, v4
	v_mov_b32_e32 v9, v3
	s_waitcnt vmcnt(1)
	v_and_b32_e32 v1, v7, v9
	s_waitcnt vmcnt(0)
	v_mad_u64_u32 v[3:4], s[20:21], v1, 24, v[15:16]
	v_and_b32_e32 v7, v8, v10
	v_mov_b32_e32 v1, v4
	v_mad_u64_u32 v[7:8], s[20:21], v7, 24, v[1:2]
	v_mov_b32_e32 v4, v7
	global_load_dwordx2 v[7:8], v[3:4], off glc
	s_waitcnt vmcnt(0)
	global_atomic_cmpswap_x2 v[3:4], v2, v[7:10], s[2:3] offset:24 glc
	s_waitcnt vmcnt(0)
	buffer_wbinvl1_vol
	v_cmp_eq_u64_e32 vcc, v[3:4], v[9:10]
	s_or_b64 s[18:19], vcc, s[18:19]
	s_andn2_b64 exec, exec, s[18:19]
	s_cbranch_execnz .LBB4_1100
; %bb.1101:                             ;   in Loop: Header=BB4_3 Depth=1
	s_or_b64 exec, exec, s[18:19]
.LBB4_1102:                             ;   in Loop: Header=BB4_3 Depth=1
	s_or_b64 exec, exec, s[16:17]
.LBB4_1103:                             ;   in Loop: Header=BB4_3 Depth=1
	s_or_b64 exec, exec, s[14:15]
	global_load_dwordx2 v[15:16], v2, s[2:3] offset:40
	global_load_dwordx4 v[7:10], v2, s[2:3]
	v_readfirstlane_b32 s15, v4
	v_readfirstlane_b32 s14, v3
	s_mov_b64 s[16:17], exec
	s_waitcnt vmcnt(1)
	v_readfirstlane_b32 s18, v15
	v_readfirstlane_b32 s19, v16
	s_and_b64 s[18:19], s[18:19], s[14:15]
	s_mul_i32 s20, s19, 24
	s_mul_hi_u32 s21, s18, 24
	s_mul_i32 s22, s18, 24
	s_add_i32 s20, s21, s20
	v_mov_b32_e32 v1, s20
	s_waitcnt vmcnt(0)
	v_add_co_u32_e32 v17, vcc, s22, v7
	v_addc_co_u32_e32 v18, vcc, v8, v1, vcc
	s_and_saveexec_b64 s[20:21], s[0:1]
	s_cbranch_execz .LBB4_1105
; %bb.1104:                             ;   in Loop: Header=BB4_3 Depth=1
	v_mov_b32_e32 v3, s16
	v_mov_b32_e32 v4, s17
	global_store_dwordx4 v[17:18], v[3:6], off offset:8
.LBB4_1105:                             ;   in Loop: Header=BB4_3 Depth=1
	s_or_b64 exec, exec, s[20:21]
	v_mul_hi_u32 v1, v12, v42
	s_lshl_b64 s[16:17], s[18:19], 12
	v_mov_b32_e32 v3, s17
	v_add_co_u32_e32 v11, vcc, s16, v9
	v_mul_lo_u32 v4, v1, v39
	v_addc_co_u32_e32 v19, vcc, v10, v3, vcc
	v_and_or_b32 v13, v13, s30, 34
	v_sub_u32_e32 v3, v12, v4
	v_add_u32_e32 v4, 1, v1
	v_cmp_ge_u32_e32 vcc, v3, v39
	v_cndmask_b32_e32 v1, v1, v4, vcc
	v_sub_u32_e32 v4, v3, v39
	v_cndmask_b32_e32 v3, v3, v4, vcc
	v_add_u32_e32 v4, 1, v1
	v_cmp_ge_u32_e32 vcc, v3, v39
	v_cndmask_b32_e32 v15, v1, v4, vcc
	v_mov_b32_e32 v16, v2
	v_readfirstlane_b32 s16, v11
	v_readfirstlane_b32 s17, v19
	s_nop 4
	global_store_dwordx4 v43, v[13:16], s[16:17]
	s_nop 0
	v_mov_b32_e32 v15, s11
	v_mov_b32_e32 v14, s10
	;; [unrolled: 1-line block ×4, first 2 shown]
	global_store_dwordx4 v43, v[12:15], s[16:17] offset:16
	global_store_dwordx4 v43, v[12:15], s[16:17] offset:32
	;; [unrolled: 1-line block ×3, first 2 shown]
	s_and_saveexec_b64 s[16:17], s[0:1]
	s_cbranch_execz .LBB4_1113
; %bb.1106:                             ;   in Loop: Header=BB4_3 Depth=1
	global_load_dwordx2 v[14:15], v2, s[2:3] offset:32 glc
	global_load_dwordx2 v[3:4], v2, s[2:3] offset:40
	v_mov_b32_e32 v12, s14
	v_mov_b32_e32 v13, s15
	s_waitcnt vmcnt(0)
	v_readfirstlane_b32 s18, v3
	v_readfirstlane_b32 s19, v4
	s_and_b64 s[18:19], s[18:19], s[14:15]
	s_mul_i32 s19, s19, 24
	s_mul_hi_u32 s20, s18, 24
	s_mul_i32 s18, s18, 24
	s_add_i32 s19, s20, s19
	v_mov_b32_e32 v1, s19
	v_add_co_u32_e32 v3, vcc, s18, v7
	v_addc_co_u32_e32 v4, vcc, v8, v1, vcc
	global_store_dwordx2 v[3:4], v[14:15], off
	s_waitcnt vmcnt(0)
	global_atomic_cmpswap_x2 v[9:10], v2, v[12:15], s[2:3] offset:32 glc
	s_waitcnt vmcnt(0)
	v_cmp_ne_u64_e32 vcc, v[9:10], v[14:15]
	s_and_saveexec_b64 s[18:19], vcc
	s_cbranch_execz .LBB4_1109
; %bb.1107:                             ;   in Loop: Header=BB4_3 Depth=1
	s_mov_b64 s[20:21], 0
.LBB4_1108:                             ;   Parent Loop BB4_3 Depth=1
                                        ; =>  This Inner Loop Header: Depth=2
	s_sleep 1
	global_store_dwordx2 v[3:4], v[9:10], off
	v_mov_b32_e32 v7, s14
	v_mov_b32_e32 v8, s15
	s_waitcnt vmcnt(0)
	global_atomic_cmpswap_x2 v[7:8], v2, v[7:10], s[2:3] offset:32 glc
	s_waitcnt vmcnt(0)
	v_cmp_eq_u64_e32 vcc, v[7:8], v[9:10]
	v_mov_b32_e32 v10, v8
	s_or_b64 s[20:21], vcc, s[20:21]
	v_mov_b32_e32 v9, v7
	s_andn2_b64 exec, exec, s[20:21]
	s_cbranch_execnz .LBB4_1108
.LBB4_1109:                             ;   in Loop: Header=BB4_3 Depth=1
	s_or_b64 exec, exec, s[18:19]
	global_load_dwordx2 v[3:4], v2, s[2:3] offset:16
	s_mov_b64 s[20:21], exec
	v_mbcnt_lo_u32_b32 v1, s20, 0
	v_mbcnt_hi_u32_b32 v1, s21, v1
	v_cmp_eq_u32_e32 vcc, 0, v1
	s_and_saveexec_b64 s[18:19], vcc
	s_cbranch_execz .LBB4_1111
; %bb.1110:                             ;   in Loop: Header=BB4_3 Depth=1
	s_bcnt1_i32_b64 s20, s[20:21]
	v_mov_b32_e32 v1, s20
	s_waitcnt vmcnt(0)
	global_atomic_add_x2 v[3:4], v[1:2], off offset:8
.LBB4_1111:                             ;   in Loop: Header=BB4_3 Depth=1
	s_or_b64 exec, exec, s[18:19]
	s_waitcnt vmcnt(0)
	global_load_dwordx2 v[7:8], v[3:4], off offset:16
	s_waitcnt vmcnt(0)
	v_cmp_eq_u64_e32 vcc, 0, v[7:8]
	s_cbranch_vccnz .LBB4_1113
; %bb.1112:                             ;   in Loop: Header=BB4_3 Depth=1
	global_load_dword v1, v[3:4], off offset:24
	s_waitcnt vmcnt(0)
	v_readfirstlane_b32 s18, v1
	s_and_b32 m0, s18, 0xffffff
	global_store_dwordx2 v[7:8], v[1:2], off
	s_sendmsg sendmsg(MSG_INTERRUPT)
.LBB4_1113:                             ;   in Loop: Header=BB4_3 Depth=1
	s_or_b64 exec, exec, s[16:17]
	v_add_co_u32_e32 v3, vcc, v11, v43
	v_addc_co_u32_e32 v4, vcc, 0, v19, vcc
	s_branch .LBB4_1117
.LBB4_1114:                             ;   in Loop: Header=BB4_1117 Depth=2
	s_or_b64 exec, exec, s[16:17]
	v_readfirstlane_b32 s16, v1
	s_cmp_eq_u32 s16, 0
	s_cbranch_scc1 .LBB4_1116
; %bb.1115:                             ;   in Loop: Header=BB4_1117 Depth=2
	s_sleep 1
	s_cbranch_execnz .LBB4_1117
	s_branch .LBB4_1119
.LBB4_1116:                             ;   in Loop: Header=BB4_3 Depth=1
	s_branch .LBB4_1119
.LBB4_1117:                             ;   Parent Loop BB4_3 Depth=1
                                        ; =>  This Inner Loop Header: Depth=2
	v_mov_b32_e32 v1, 1
	s_and_saveexec_b64 s[16:17], s[0:1]
	s_cbranch_execz .LBB4_1114
; %bb.1118:                             ;   in Loop: Header=BB4_1117 Depth=2
	global_load_dword v1, v[17:18], off offset:20 glc
	s_waitcnt vmcnt(0)
	buffer_wbinvl1_vol
	v_and_b32_e32 v1, 1, v1
	s_branch .LBB4_1114
.LBB4_1119:                             ;   in Loop: Header=BB4_3 Depth=1
	global_load_dwordx2 v[3:4], v[3:4], off
	s_and_saveexec_b64 s[16:17], s[0:1]
	s_cbranch_execz .LBB4_2
; %bb.1120:                             ;   in Loop: Header=BB4_3 Depth=1
	global_load_dwordx2 v[7:8], v2, s[2:3] offset:40
	global_load_dwordx2 v[15:16], v2, s[2:3] offset:24 glc
	global_load_dwordx2 v[9:10], v2, s[2:3]
	s_waitcnt vmcnt(2)
	v_readfirstlane_b32 s18, v7
	v_readfirstlane_b32 s19, v8
	s_add_u32 s20, s18, 1
	s_addc_u32 s21, s19, 0
	s_add_u32 s0, s20, s14
	s_addc_u32 s1, s21, s15
	s_cmp_eq_u64 s[0:1], 0
	s_cselect_b32 s1, s21, s1
	s_cselect_b32 s0, s20, s0
	s_and_b64 s[14:15], s[0:1], s[18:19]
	s_mul_i32 s15, s15, 24
	s_mul_hi_u32 s18, s14, 24
	s_mul_i32 s14, s14, 24
	s_add_i32 s15, s18, s15
	v_mov_b32_e32 v1, s15
	s_waitcnt vmcnt(0)
	v_add_co_u32_e32 v11, vcc, s14, v9
	v_addc_co_u32_e32 v12, vcc, v10, v1, vcc
	v_mov_b32_e32 v13, s0
	global_store_dwordx2 v[11:12], v[15:16], off
	v_mov_b32_e32 v14, s1
	s_waitcnt vmcnt(0)
	global_atomic_cmpswap_x2 v[9:10], v2, v[13:16], s[2:3] offset:24 glc
	s_waitcnt vmcnt(0)
	v_cmp_ne_u64_e32 vcc, v[9:10], v[15:16]
	s_and_b64 exec, exec, vcc
	s_cbranch_execz .LBB4_2
; %bb.1121:                             ;   in Loop: Header=BB4_3 Depth=1
	s_mov_b64 s[14:15], 0
.LBB4_1122:                             ;   Parent Loop BB4_3 Depth=1
                                        ; =>  This Inner Loop Header: Depth=2
	s_sleep 1
	global_store_dwordx2 v[11:12], v[9:10], off
	v_mov_b32_e32 v7, s0
	v_mov_b32_e32 v8, s1
	s_waitcnt vmcnt(0)
	global_atomic_cmpswap_x2 v[7:8], v2, v[7:10], s[2:3] offset:24 glc
	s_waitcnt vmcnt(0)
	v_cmp_eq_u64_e32 vcc, v[7:8], v[9:10]
	v_mov_b32_e32 v10, v8
	s_or_b64 s[14:15], vcc, s[14:15]
	v_mov_b32_e32 v9, v7
	s_andn2_b64 exec, exec, s[14:15]
	s_cbranch_execnz .LBB4_1122
	s_branch .LBB4_2
.LBB4_1123:
	v_mov_b32_e32 v41, 0
.LBB4_1124:
	s_load_dwordx2 s[0:1], s[4:5], 0x8
	v_mov_b32_e32 v36, 0
	v_lshlrev_b64 v[0:1], 2, v[35:36]
	s_waitcnt lgkmcnt(0)
	v_mov_b32_e32 v2, s1
	v_add_co_u32_e32 v0, vcc, s0, v0
	v_addc_co_u32_e32 v1, vcc, v2, v1, vcc
	global_store_dword v[0:1], v41, off
	s_endpgm
	.section	.rodata,"a",@progbits
	.p2align	6, 0x0
	.amdhsa_kernel _ZN19hipPrintfStressTest21kernel_dependent_calcEjPi
		.amdhsa_group_segment_fixed_size 0
		.amdhsa_private_segment_fixed_size 0
		.amdhsa_kernarg_size 272
		.amdhsa_user_sgpr_count 6
		.amdhsa_user_sgpr_private_segment_buffer 1
		.amdhsa_user_sgpr_dispatch_ptr 0
		.amdhsa_user_sgpr_queue_ptr 0
		.amdhsa_user_sgpr_kernarg_segment_ptr 1
		.amdhsa_user_sgpr_dispatch_id 0
		.amdhsa_user_sgpr_flat_scratch_init 0
		.amdhsa_user_sgpr_private_segment_size 0
		.amdhsa_uses_dynamic_stack 0
		.amdhsa_system_sgpr_private_segment_wavefront_offset 0
		.amdhsa_system_sgpr_workgroup_id_x 1
		.amdhsa_system_sgpr_workgroup_id_y 0
		.amdhsa_system_sgpr_workgroup_id_z 0
		.amdhsa_system_sgpr_workgroup_info 0
		.amdhsa_system_vgpr_workitem_id 0
		.amdhsa_next_free_vgpr 44
		.amdhsa_next_free_sgpr 34
		.amdhsa_reserve_vcc 1
		.amdhsa_reserve_flat_scratch 0
		.amdhsa_float_round_mode_32 0
		.amdhsa_float_round_mode_16_64 0
		.amdhsa_float_denorm_mode_32 3
		.amdhsa_float_denorm_mode_16_64 3
		.amdhsa_dx10_clamp 1
		.amdhsa_ieee_mode 1
		.amdhsa_fp16_overflow 0
		.amdhsa_exception_fp_ieee_invalid_op 0
		.amdhsa_exception_fp_denorm_src 0
		.amdhsa_exception_fp_ieee_div_zero 0
		.amdhsa_exception_fp_ieee_overflow 0
		.amdhsa_exception_fp_ieee_underflow 0
		.amdhsa_exception_fp_ieee_inexact 0
		.amdhsa_exception_int_div_zero 0
	.end_amdhsa_kernel
	.text
.Lfunc_end4:
	.size	_ZN19hipPrintfStressTest21kernel_dependent_calcEjPi, .Lfunc_end4-_ZN19hipPrintfStressTest21kernel_dependent_calcEjPi
                                        ; -- End function
	.set _ZN19hipPrintfStressTest21kernel_dependent_calcEjPi.num_vgpr, 44
	.set _ZN19hipPrintfStressTest21kernel_dependent_calcEjPi.num_agpr, 0
	.set _ZN19hipPrintfStressTest21kernel_dependent_calcEjPi.numbered_sgpr, 34
	.set _ZN19hipPrintfStressTest21kernel_dependent_calcEjPi.num_named_barrier, 0
	.set _ZN19hipPrintfStressTest21kernel_dependent_calcEjPi.private_seg_size, 0
	.set _ZN19hipPrintfStressTest21kernel_dependent_calcEjPi.uses_vcc, 1
	.set _ZN19hipPrintfStressTest21kernel_dependent_calcEjPi.uses_flat_scratch, 0
	.set _ZN19hipPrintfStressTest21kernel_dependent_calcEjPi.has_dyn_sized_stack, 0
	.set _ZN19hipPrintfStressTest21kernel_dependent_calcEjPi.has_recursion, 0
	.set _ZN19hipPrintfStressTest21kernel_dependent_calcEjPi.has_indirect_call, 0
	.section	.AMDGPU.csdata,"",@progbits
; Kernel info:
; codeLenInByte = 36280
; TotalNumSgprs: 38
; NumVgprs: 44
; ScratchSize: 0
; MemoryBound: 0
; FloatMode: 240
; IeeeMode: 1
; LDSByteSize: 0 bytes/workgroup (compile time only)
; SGPRBlocks: 4
; VGPRBlocks: 10
; NumSGPRsForWavesPerEU: 38
; NumVGPRsForWavesPerEU: 44
; Occupancy: 5
; WaveLimiterHint : 1
; COMPUTE_PGM_RSRC2:SCRATCH_EN: 0
; COMPUTE_PGM_RSRC2:USER_SGPR: 6
; COMPUTE_PGM_RSRC2:TRAP_HANDLER: 0
; COMPUTE_PGM_RSRC2:TGID_X_EN: 1
; COMPUTE_PGM_RSRC2:TGID_Y_EN: 0
; COMPUTE_PGM_RSRC2:TGID_Z_EN: 0
; COMPUTE_PGM_RSRC2:TIDIG_COMP_CNT: 0
	.text
	.protected	_ZN19hipPrintfStressTest28kernel_dependent_calc_atomicEjPi ; -- Begin function _ZN19hipPrintfStressTest28kernel_dependent_calc_atomicEjPi
	.globl	_ZN19hipPrintfStressTest28kernel_dependent_calc_atomicEjPi
	.p2align	8
	.type	_ZN19hipPrintfStressTest28kernel_dependent_calc_atomicEjPi,@function
_ZN19hipPrintfStressTest28kernel_dependent_calc_atomicEjPi: ; @_ZN19hipPrintfStressTest28kernel_dependent_calc_atomicEjPi
; %bb.0:
	s_load_dword s2, s[6:7], 0x1c
	s_load_dword s28, s[6:7], 0x0
	s_add_u32 s0, s6, 16
	s_addc_u32 s1, s7, 0
	s_waitcnt lgkmcnt(0)
	s_and_b32 s2, s2, 0xffff
	s_mul_i32 s8, s8, s2
	v_add_u32_e32 v42, s8, v0
	s_cmp_eq_u32 s28, 0
	s_mov_b32 s8, 0
	s_cbranch_scc1 .LBB5_1123
; %bb.1:
	s_load_dwordx2 s[10:11], s[4:5], 0x4
	s_load_dwordx2 s[2:3], s[0:1], 0x50
	v_mbcnt_lo_u32_b32 v4, -1, 0
	v_mov_b32_e32 v3, 0
	v_mbcnt_hi_u32_b32 v47, -1, v4
	s_waitcnt lgkmcnt(0)
	s_lshr_b32 s0, s10, 16
	s_mul_i32 s0, s0, s11
	v_mul_lo_u32 v0, s0, v0
	s_getpc_b64 s[0:1]
	s_add_u32 s0, s0, .str.7@rel32@lo+4
	s_addc_u32 s1, s1, .str.7@rel32@hi+12
	s_cmp_lg_u64 s[0:1], 0
	s_cselect_b64 s[4:5], -1, 0
	v_mad_u32_u24 v0, v1, s11, v0
	s_getpc_b64 s[0:1]
	s_add_u32 s0, s0, .str.6@rel32@lo+4
	s_addc_u32 s1, s1, .str.6@rel32@hi+12
	s_mov_b32 s11, s8
	v_add_lshl_u32 v48, v0, v2, 2
	s_cmp_lg_u64 s[0:1], 0
	s_mov_b32 s9, s8
	s_mov_b32 s10, s8
	v_mov_b32_e32 v19, s11
	v_add_u32_e32 v49, 0x3000, v48
	v_add_u32_e32 v50, 0x2000, v48
	;; [unrolled: 1-line block ×3, first 2 shown]
	s_cselect_b64 s[12:13], -1, 0
	s_movk_i32 s29, 0xff1f
	s_movk_i32 s30, 0xff1d
	v_mov_b32_e32 v6, 2
	v_mov_b32_e32 v7, 1
	v_lshlrev_b32_e32 v53, 6, v47
	v_mov_b32_e32 v8, 33
	v_mov_b32_e32 v12, 33
	;; [unrolled: 1-line block ×8, first 2 shown]
	s_mov_b32 s31, s8
	v_mov_b32_e32 v52, 0
	s_branch .LBB5_3
.LBB5_2:                                ;   in Loop: Header=BB5_3 Depth=1
	s_or_b64 exec, exec, s[16:17]
	s_waitcnt vmcnt(0)
	v_add3_u32 v1, v52, v43, v44
	s_add_i32 s31, s31, 1
	s_cmp_eq_u32 s31, s28
	v_add3_u32 v52, v1, v45, v0
	s_cbranch_scc1 .LBB5_1124
.LBB5_3:                                ; =>This Loop Header: Depth=1
                                        ;     Child Loop BB5_6 Depth 2
                                        ;     Child Loop BB5_14 Depth 2
                                        ;     Child Loop BB5_23 Depth 2
                                        ;     Child Loop BB5_28 Depth 2
                                        ;     Child Loop BB5_205 Depth 2
                                        ;     Child Loop BB5_213 Depth 2
                                        ;     Child Loop BB5_222 Depth 2
                                        ;     Child Loop BB5_227 Depth 2
                                        ;     Child Loop BB5_32 Depth 2
                                        ;       Child Loop BB5_35 Depth 3
                                        ;       Child Loop BB5_43 Depth 3
                                        ;       Child Loop BB5_51 Depth 3
                                        ;       Child Loop BB5_59 Depth 3
                                        ;       Child Loop BB5_67 Depth 3
                                        ;       Child Loop BB5_75 Depth 3
                                        ;       Child Loop BB5_83 Depth 3
                                        ;       Child Loop BB5_91 Depth 3
                                        ;       Child Loop BB5_99 Depth 3
                                        ;       Child Loop BB5_108 Depth 3
                                        ;       Child Loop BB5_113 Depth 3
                                        ;     Child Loop BB5_233 Depth 2
                                        ;     Child Loop BB5_241 Depth 2
                                        ;     Child Loop BB5_250 Depth 2
                                        ;     Child Loop BB5_255 Depth 2
                                        ;     Child Loop BB5_118 Depth 2
                                        ;       Child Loop BB5_121 Depth 3
                                        ;       Child Loop BB5_129 Depth 3
                                        ;       Child Loop BB5_137 Depth 3
                                        ;       Child Loop BB5_145 Depth 3
                                        ;       Child Loop BB5_153 Depth 3
                                        ;       Child Loop BB5_161 Depth 3
                                        ;       Child Loop BB5_169 Depth 3
                                        ;       Child Loop BB5_177 Depth 3
                                        ;       Child Loop BB5_185 Depth 3
                                        ;       Child Loop BB5_194 Depth 3
                                        ;       Child Loop BB5_199 Depth 3
                                        ;     Child Loop BB5_260 Depth 2
                                        ;     Child Loop BB5_268 Depth 2
                                        ;     Child Loop BB5_277 Depth 2
                                        ;     Child Loop BB5_282 Depth 2
                                        ;     Child Loop BB5_286 Depth 2
                                        ;     Child Loop BB5_294 Depth 2
                                        ;     Child Loop BB5_303 Depth 2
                                        ;     Child Loop BB5_308 Depth 2
                                        ;     Child Loop BB5_485 Depth 2
                                        ;     Child Loop BB5_493 Depth 2
                                        ;     Child Loop BB5_502 Depth 2
                                        ;     Child Loop BB5_507 Depth 2
                                        ;     Child Loop BB5_312 Depth 2
                                        ;       Child Loop BB5_315 Depth 3
                                        ;       Child Loop BB5_323 Depth 3
                                        ;       Child Loop BB5_331 Depth 3
                                        ;       Child Loop BB5_339 Depth 3
                                        ;       Child Loop BB5_347 Depth 3
                                        ;       Child Loop BB5_355 Depth 3
                                        ;       Child Loop BB5_363 Depth 3
                                        ;       Child Loop BB5_371 Depth 3
                                        ;       Child Loop BB5_379 Depth 3
                                        ;       Child Loop BB5_388 Depth 3
                                        ;       Child Loop BB5_393 Depth 3
                                        ;     Child Loop BB5_513 Depth 2
                                        ;     Child Loop BB5_521 Depth 2
                                        ;     Child Loop BB5_530 Depth 2
                                        ;     Child Loop BB5_535 Depth 2
                                        ;     Child Loop BB5_398 Depth 2
                                        ;       Child Loop BB5_401 Depth 3
                                        ;       Child Loop BB5_409 Depth 3
                                        ;       Child Loop BB5_417 Depth 3
                                        ;       Child Loop BB5_425 Depth 3
                                        ;       Child Loop BB5_433 Depth 3
                                        ;       Child Loop BB5_441 Depth 3
                                        ;       Child Loop BB5_449 Depth 3
                                        ;       Child Loop BB5_457 Depth 3
                                        ;       Child Loop BB5_465 Depth 3
                                        ;       Child Loop BB5_474 Depth 3
                                        ;       Child Loop BB5_479 Depth 3
                                        ;     Child Loop BB5_540 Depth 2
                                        ;     Child Loop BB5_548 Depth 2
                                        ;     Child Loop BB5_557 Depth 2
                                        ;     Child Loop BB5_562 Depth 2
	;; [unrolled: 40-line block ×4, first 2 shown]
	v_readfirstlane_b32 s0, v47
	v_mov_b32_e32 v0, 0
	v_add_u32_e32 v11, s31, v42
	v_mov_b32_e32 v1, 0
	v_cmp_eq_u32_e64 s[0:1], s0, v47
	ds_write_b32 v49, v11
	s_and_saveexec_b64 s[14:15], s[0:1]
	s_cbranch_execz .LBB5_9
; %bb.4:                                ;   in Loop: Header=BB5_3 Depth=1
	global_load_dwordx2 v[22:23], v3, s[2:3] offset:24 glc
	s_waitcnt vmcnt(0)
	buffer_wbinvl1_vol
	global_load_dwordx2 v[0:1], v3, s[2:3] offset:40
	global_load_dwordx2 v[4:5], v3, s[2:3]
	s_waitcnt vmcnt(1)
	v_and_b32_e32 v0, v0, v22
	v_and_b32_e32 v1, v1, v23
	v_mul_lo_u32 v1, v1, 24
	v_mul_hi_u32 v2, v0, 24
	v_mul_lo_u32 v0, v0, 24
	v_add_u32_e32 v1, v2, v1
	s_waitcnt vmcnt(0)
	v_add_co_u32_e32 v0, vcc, v4, v0
	v_addc_co_u32_e32 v1, vcc, v5, v1, vcc
	global_load_dwordx2 v[20:21], v[0:1], off glc
	s_waitcnt vmcnt(0)
	global_atomic_cmpswap_x2 v[0:1], v3, v[20:23], s[2:3] offset:24 glc
	s_waitcnt vmcnt(0)
	buffer_wbinvl1_vol
	v_cmp_ne_u64_e32 vcc, v[0:1], v[22:23]
	s_and_saveexec_b64 s[16:17], vcc
	s_cbranch_execz .LBB5_8
; %bb.5:                                ;   in Loop: Header=BB5_3 Depth=1
	s_mov_b64 s[18:19], 0
.LBB5_6:                                ;   Parent Loop BB5_3 Depth=1
                                        ; =>  This Inner Loop Header: Depth=2
	s_sleep 1
	global_load_dwordx2 v[4:5], v3, s[2:3] offset:40
	global_load_dwordx2 v[9:10], v3, s[2:3]
	v_mov_b32_e32 v23, v1
	v_mov_b32_e32 v22, v0
	s_waitcnt vmcnt(1)
	v_and_b32_e32 v0, v4, v22
	s_waitcnt vmcnt(0)
	v_mad_u64_u32 v[0:1], s[20:21], v0, 24, v[9:10]
	v_and_b32_e32 v2, v5, v23
	v_mad_u64_u32 v[1:2], s[20:21], v2, 24, v[1:2]
	global_load_dwordx2 v[20:21], v[0:1], off glc
	s_waitcnt vmcnt(0)
	global_atomic_cmpswap_x2 v[0:1], v3, v[20:23], s[2:3] offset:24 glc
	s_waitcnt vmcnt(0)
	buffer_wbinvl1_vol
	v_cmp_eq_u64_e32 vcc, v[0:1], v[22:23]
	s_or_b64 s[18:19], vcc, s[18:19]
	s_andn2_b64 exec, exec, s[18:19]
	s_cbranch_execnz .LBB5_6
; %bb.7:                                ;   in Loop: Header=BB5_3 Depth=1
	s_or_b64 exec, exec, s[18:19]
.LBB5_8:                                ;   in Loop: Header=BB5_3 Depth=1
	s_or_b64 exec, exec, s[16:17]
.LBB5_9:                                ;   in Loop: Header=BB5_3 Depth=1
	s_or_b64 exec, exec, s[14:15]
	global_load_dwordx2 v[4:5], v3, s[2:3] offset:40
	global_load_dwordx4 v[20:23], v3, s[2:3]
	v_readfirstlane_b32 s15, v1
	v_readfirstlane_b32 s14, v0
	s_mov_b64 s[16:17], exec
	s_waitcnt vmcnt(1)
	v_readfirstlane_b32 s18, v4
	v_readfirstlane_b32 s19, v5
	s_and_b64 s[18:19], s[18:19], s[14:15]
	s_mul_i32 s20, s19, 24
	s_mul_hi_u32 s21, s18, 24
	s_mul_i32 s22, s18, 24
	s_add_i32 s20, s21, s20
	v_mov_b32_e32 v1, s20
	s_waitcnt vmcnt(0)
	v_add_co_u32_e32 v0, vcc, s22, v20
	v_addc_co_u32_e32 v1, vcc, v21, v1, vcc
	s_and_saveexec_b64 s[20:21], s[0:1]
	s_cbranch_execz .LBB5_11
; %bb.10:                               ;   in Loop: Header=BB5_3 Depth=1
	v_mov_b32_e32 v4, s16
	v_mov_b32_e32 v5, s17
	global_store_dwordx4 v[0:1], v[4:7], off offset:8
.LBB5_11:                               ;   in Loop: Header=BB5_3 Depth=1
	s_or_b64 exec, exec, s[20:21]
	s_lshl_b64 s[16:17], s[18:19], 12
	v_mov_b32_e32 v2, s17
	v_add_co_u32_e32 v24, vcc, s16, v22
	v_addc_co_u32_e32 v25, vcc, v23, v2, vcc
	v_readfirstlane_b32 s16, v24
	v_readfirstlane_b32 s17, v25
	s_nop 4
	global_store_dwordx4 v53, v[12:15], s[16:17]
	global_store_dwordx4 v53, v[16:19], s[16:17] offset:16
	global_store_dwordx4 v53, v[16:19], s[16:17] offset:32
	;; [unrolled: 1-line block ×3, first 2 shown]
	s_and_saveexec_b64 s[16:17], s[0:1]
	s_cbranch_execz .LBB5_19
; %bb.12:                               ;   in Loop: Header=BB5_3 Depth=1
	global_load_dwordx2 v[28:29], v3, s[2:3] offset:32 glc
	global_load_dwordx2 v[4:5], v3, s[2:3] offset:40
	v_mov_b32_e32 v26, s14
	v_mov_b32_e32 v27, s15
	s_waitcnt vmcnt(0)
	v_readfirstlane_b32 s18, v4
	v_readfirstlane_b32 s19, v5
	s_and_b64 s[18:19], s[18:19], s[14:15]
	s_mul_i32 s19, s19, 24
	s_mul_hi_u32 s20, s18, 24
	s_mul_i32 s18, s18, 24
	s_add_i32 s19, s20, s19
	v_mov_b32_e32 v2, s19
	v_add_co_u32_e32 v4, vcc, s18, v20
	v_addc_co_u32_e32 v5, vcc, v21, v2, vcc
	global_store_dwordx2 v[4:5], v[28:29], off
	s_waitcnt vmcnt(0)
	global_atomic_cmpswap_x2 v[22:23], v3, v[26:29], s[2:3] offset:32 glc
	s_waitcnt vmcnt(0)
	v_cmp_ne_u64_e32 vcc, v[22:23], v[28:29]
	s_and_saveexec_b64 s[18:19], vcc
	s_cbranch_execz .LBB5_15
; %bb.13:                               ;   in Loop: Header=BB5_3 Depth=1
	s_mov_b64 s[20:21], 0
.LBB5_14:                               ;   Parent Loop BB5_3 Depth=1
                                        ; =>  This Inner Loop Header: Depth=2
	s_sleep 1
	global_store_dwordx2 v[4:5], v[22:23], off
	v_mov_b32_e32 v20, s14
	v_mov_b32_e32 v21, s15
	s_waitcnt vmcnt(0)
	global_atomic_cmpswap_x2 v[9:10], v3, v[20:23], s[2:3] offset:32 glc
	s_waitcnt vmcnt(0)
	v_cmp_eq_u64_e32 vcc, v[9:10], v[22:23]
	v_mov_b32_e32 v23, v10
	s_or_b64 s[20:21], vcc, s[20:21]
	v_mov_b32_e32 v22, v9
	s_andn2_b64 exec, exec, s[20:21]
	s_cbranch_execnz .LBB5_14
.LBB5_15:                               ;   in Loop: Header=BB5_3 Depth=1
	s_or_b64 exec, exec, s[18:19]
	global_load_dwordx2 v[4:5], v3, s[2:3] offset:16
	s_mov_b64 s[20:21], exec
	v_mbcnt_lo_u32_b32 v2, s20, 0
	v_mbcnt_hi_u32_b32 v2, s21, v2
	v_cmp_eq_u32_e32 vcc, 0, v2
	s_and_saveexec_b64 s[18:19], vcc
	s_cbranch_execz .LBB5_17
; %bb.16:                               ;   in Loop: Header=BB5_3 Depth=1
	s_bcnt1_i32_b64 s20, s[20:21]
	v_mov_b32_e32 v2, s20
	s_waitcnt vmcnt(0)
	global_atomic_add_x2 v[4:5], v[2:3], off offset:8
.LBB5_17:                               ;   in Loop: Header=BB5_3 Depth=1
	s_or_b64 exec, exec, s[18:19]
	s_waitcnt vmcnt(0)
	global_load_dwordx2 v[9:10], v[4:5], off offset:16
	s_waitcnt vmcnt(0)
	v_cmp_eq_u64_e32 vcc, 0, v[9:10]
	s_cbranch_vccnz .LBB5_19
; %bb.18:                               ;   in Loop: Header=BB5_3 Depth=1
	global_load_dword v2, v[4:5], off offset:24
	s_waitcnt vmcnt(0)
	v_readfirstlane_b32 s18, v2
	s_and_b32 m0, s18, 0xffffff
	global_store_dwordx2 v[9:10], v[2:3], off
	s_sendmsg sendmsg(MSG_INTERRUPT)
.LBB5_19:                               ;   in Loop: Header=BB5_3 Depth=1
	s_or_b64 exec, exec, s[16:17]
	v_add_co_u32_e32 v4, vcc, v24, v53
	v_addc_co_u32_e32 v5, vcc, 0, v25, vcc
	s_branch .LBB5_23
.LBB5_20:                               ;   in Loop: Header=BB5_23 Depth=2
	s_or_b64 exec, exec, s[16:17]
	v_readfirstlane_b32 s16, v2
	s_cmp_eq_u32 s16, 0
	s_cbranch_scc1 .LBB5_22
; %bb.21:                               ;   in Loop: Header=BB5_23 Depth=2
	s_sleep 1
	s_cbranch_execnz .LBB5_23
	s_branch .LBB5_25
.LBB5_22:                               ;   in Loop: Header=BB5_3 Depth=1
	s_branch .LBB5_25
.LBB5_23:                               ;   Parent Loop BB5_3 Depth=1
                                        ; =>  This Inner Loop Header: Depth=2
	v_mov_b32_e32 v2, 1
	s_and_saveexec_b64 s[16:17], s[0:1]
	s_cbranch_execz .LBB5_20
; %bb.24:                               ;   in Loop: Header=BB5_23 Depth=2
	global_load_dword v2, v[0:1], off offset:20 glc
	s_waitcnt vmcnt(0)
	buffer_wbinvl1_vol
	v_and_b32_e32 v2, 1, v2
	s_branch .LBB5_20
.LBB5_25:                               ;   in Loop: Header=BB5_3 Depth=1
	global_load_dwordx2 v[0:1], v[4:5], off
	s_and_saveexec_b64 s[16:17], s[0:1]
	s_cbranch_execz .LBB5_29
; %bb.26:                               ;   in Loop: Header=BB5_3 Depth=1
	global_load_dwordx2 v[4:5], v3, s[2:3] offset:40
	global_load_dwordx2 v[24:25], v3, s[2:3] offset:24 glc
	global_load_dwordx2 v[9:10], v3, s[2:3]
	s_waitcnt vmcnt(2)
	v_readfirstlane_b32 s18, v4
	v_readfirstlane_b32 s19, v5
	s_add_u32 s20, s18, 1
	s_addc_u32 s21, s19, 0
	s_add_u32 s0, s20, s14
	s_addc_u32 s1, s21, s15
	s_cmp_eq_u64 s[0:1], 0
	s_cselect_b32 s1, s21, s1
	s_cselect_b32 s0, s20, s0
	s_and_b64 s[14:15], s[0:1], s[18:19]
	s_mul_i32 s15, s15, 24
	s_mul_hi_u32 s18, s14, 24
	s_mul_i32 s14, s14, 24
	s_add_i32 s15, s18, s15
	v_mov_b32_e32 v2, s15
	s_waitcnt vmcnt(0)
	v_add_co_u32_e32 v4, vcc, s14, v9
	v_addc_co_u32_e32 v5, vcc, v10, v2, vcc
	v_mov_b32_e32 v22, s0
	global_store_dwordx2 v[4:5], v[24:25], off
	v_mov_b32_e32 v23, s1
	s_waitcnt vmcnt(0)
	global_atomic_cmpswap_x2 v[22:23], v3, v[22:25], s[2:3] offset:24 glc
	s_waitcnt vmcnt(0)
	v_cmp_ne_u64_e32 vcc, v[22:23], v[24:25]
	s_and_b64 exec, exec, vcc
	s_cbranch_execz .LBB5_29
; %bb.27:                               ;   in Loop: Header=BB5_3 Depth=1
	s_mov_b64 s[14:15], 0
.LBB5_28:                               ;   Parent Loop BB5_3 Depth=1
                                        ; =>  This Inner Loop Header: Depth=2
	s_sleep 1
	global_store_dwordx2 v[4:5], v[22:23], off
	v_mov_b32_e32 v20, s0
	v_mov_b32_e32 v21, s1
	s_waitcnt vmcnt(0)
	global_atomic_cmpswap_x2 v[9:10], v3, v[20:23], s[2:3] offset:24 glc
	s_waitcnt vmcnt(0)
	v_cmp_eq_u64_e32 vcc, v[9:10], v[22:23]
	v_mov_b32_e32 v23, v10
	s_or_b64 s[14:15], vcc, s[14:15]
	v_mov_b32_e32 v22, v9
	s_andn2_b64 exec, exec, s[14:15]
	s_cbranch_execnz .LBB5_28
.LBB5_29:                               ;   in Loop: Header=BB5_3 Depth=1
	s_or_b64 exec, exec, s[16:17]
	s_and_b64 vcc, exec, s[4:5]
	s_cbranch_vccz .LBB5_201
; %bb.30:                               ;   in Loop: Header=BB5_3 Depth=1
	s_waitcnt vmcnt(0)
	v_and_b32_e32 v40, 2, v0
	v_and_b32_e32 v20, -3, v0
	v_mov_b32_e32 v21, v1
	s_mov_b64 s[16:17], 6
	s_getpc_b64 s[14:15]
	s_add_u32 s14, s14, .str.7@rel32@lo+4
	s_addc_u32 s15, s15, .str.7@rel32@hi+12
	s_branch .LBB5_32
.LBB5_31:                               ;   in Loop: Header=BB5_32 Depth=2
	s_or_b64 exec, exec, s[22:23]
	s_sub_u32 s16, s16, s18
	s_subb_u32 s17, s17, s19
	s_add_u32 s14, s14, s18
	s_addc_u32 s15, s15, s19
	s_cmp_lg_u64 s[16:17], 0
	s_cbranch_scc0 .LBB5_114
.LBB5_32:                               ;   Parent Loop BB5_3 Depth=1
                                        ; =>  This Loop Header: Depth=2
                                        ;       Child Loop BB5_35 Depth 3
                                        ;       Child Loop BB5_43 Depth 3
	;; [unrolled: 1-line block ×11, first 2 shown]
	v_cmp_lt_u64_e64 s[0:1], s[16:17], 56
	v_cmp_gt_u64_e64 s[20:21], s[16:17], 7
	s_and_b64 s[0:1], s[0:1], exec
	s_cselect_b32 s19, s17, 0
	s_cselect_b32 s18, s16, 56
	s_add_u32 s0, s14, 8
	s_addc_u32 s1, s15, 0
	s_and_b64 vcc, exec, s[20:21]
	s_cbranch_vccnz .LBB5_36
; %bb.33:                               ;   in Loop: Header=BB5_32 Depth=2
	s_cmp_eq_u64 s[16:17], 0
	s_cbranch_scc1 .LBB5_37
; %bb.34:                               ;   in Loop: Header=BB5_32 Depth=2
	v_mov_b32_e32 v22, 0
	s_lshl_b64 s[0:1], s[18:19], 3
	s_mov_b64 s[20:21], 0
	v_mov_b32_e32 v23, 0
	s_mov_b64 s[22:23], s[14:15]
.LBB5_35:                               ;   Parent Loop BB5_3 Depth=1
                                        ;     Parent Loop BB5_32 Depth=2
                                        ; =>    This Inner Loop Header: Depth=3
	global_load_ubyte v2, v3, s[22:23]
	s_waitcnt vmcnt(0)
	v_and_b32_e32 v2, 0xffff, v2
	v_lshlrev_b64 v[4:5], s20, v[2:3]
	s_add_u32 s20, s20, 8
	s_addc_u32 s21, s21, 0
	s_add_u32 s22, s22, 1
	s_addc_u32 s23, s23, 0
	v_or_b32_e32 v22, v4, v22
	s_cmp_lg_u32 s0, s20
	v_or_b32_e32 v23, v5, v23
	s_cbranch_scc1 .LBB5_35
	s_branch .LBB5_38
.LBB5_36:                               ;   in Loop: Header=BB5_32 Depth=2
	s_mov_b32 s24, 0
	s_branch .LBB5_39
.LBB5_37:                               ;   in Loop: Header=BB5_32 Depth=2
	v_mov_b32_e32 v22, 0
	v_mov_b32_e32 v23, 0
.LBB5_38:                               ;   in Loop: Header=BB5_32 Depth=2
	s_mov_b64 s[0:1], s[14:15]
	s_mov_b32 s24, 0
	s_cbranch_execnz .LBB5_40
.LBB5_39:                               ;   in Loop: Header=BB5_32 Depth=2
	global_load_dwordx2 v[22:23], v3, s[14:15]
	s_add_i32 s24, s18, -8
.LBB5_40:                               ;   in Loop: Header=BB5_32 Depth=2
	s_add_u32 s20, s0, 8
	s_addc_u32 s21, s1, 0
	s_cmp_gt_u32 s24, 7
	s_cbranch_scc1 .LBB5_44
; %bb.41:                               ;   in Loop: Header=BB5_32 Depth=2
	s_cmp_eq_u32 s24, 0
	s_cbranch_scc1 .LBB5_45
; %bb.42:                               ;   in Loop: Header=BB5_32 Depth=2
	v_mov_b32_e32 v24, 0
	s_mov_b64 s[20:21], 0
	v_mov_b32_e32 v25, 0
	s_mov_b64 s[22:23], 0
.LBB5_43:                               ;   Parent Loop BB5_3 Depth=1
                                        ;     Parent Loop BB5_32 Depth=2
                                        ; =>    This Inner Loop Header: Depth=3
	s_add_u32 s26, s0, s22
	s_addc_u32 s27, s1, s23
	global_load_ubyte v2, v3, s[26:27]
	s_add_u32 s22, s22, 1
	s_addc_u32 s23, s23, 0
	s_waitcnt vmcnt(0)
	v_and_b32_e32 v2, 0xffff, v2
	v_lshlrev_b64 v[4:5], s20, v[2:3]
	s_add_u32 s20, s20, 8
	s_addc_u32 s21, s21, 0
	v_or_b32_e32 v24, v4, v24
	s_cmp_lg_u32 s24, s22
	v_or_b32_e32 v25, v5, v25
	s_cbranch_scc1 .LBB5_43
	s_branch .LBB5_46
.LBB5_44:                               ;   in Loop: Header=BB5_32 Depth=2
                                        ; implicit-def: $vgpr24_vgpr25
	s_mov_b32 s25, 0
	s_branch .LBB5_47
.LBB5_45:                               ;   in Loop: Header=BB5_32 Depth=2
	v_mov_b32_e32 v24, 0
	v_mov_b32_e32 v25, 0
.LBB5_46:                               ;   in Loop: Header=BB5_32 Depth=2
	s_mov_b64 s[20:21], s[0:1]
	s_mov_b32 s25, 0
	s_cbranch_execnz .LBB5_48
.LBB5_47:                               ;   in Loop: Header=BB5_32 Depth=2
	global_load_dwordx2 v[24:25], v3, s[0:1]
	s_add_i32 s25, s24, -8
.LBB5_48:                               ;   in Loop: Header=BB5_32 Depth=2
	s_add_u32 s0, s20, 8
	s_addc_u32 s1, s21, 0
	s_cmp_gt_u32 s25, 7
	s_cbranch_scc1 .LBB5_52
; %bb.49:                               ;   in Loop: Header=BB5_32 Depth=2
	s_cmp_eq_u32 s25, 0
	s_cbranch_scc1 .LBB5_53
; %bb.50:                               ;   in Loop: Header=BB5_32 Depth=2
	v_mov_b32_e32 v26, 0
	s_mov_b64 s[0:1], 0
	v_mov_b32_e32 v27, 0
	s_mov_b64 s[22:23], 0
.LBB5_51:                               ;   Parent Loop BB5_3 Depth=1
                                        ;     Parent Loop BB5_32 Depth=2
                                        ; =>    This Inner Loop Header: Depth=3
	s_add_u32 s26, s20, s22
	s_addc_u32 s27, s21, s23
	global_load_ubyte v2, v3, s[26:27]
	s_add_u32 s22, s22, 1
	s_addc_u32 s23, s23, 0
	s_waitcnt vmcnt(0)
	v_and_b32_e32 v2, 0xffff, v2
	v_lshlrev_b64 v[4:5], s0, v[2:3]
	s_add_u32 s0, s0, 8
	s_addc_u32 s1, s1, 0
	v_or_b32_e32 v26, v4, v26
	s_cmp_lg_u32 s25, s22
	v_or_b32_e32 v27, v5, v27
	s_cbranch_scc1 .LBB5_51
	s_branch .LBB5_54
.LBB5_52:                               ;   in Loop: Header=BB5_32 Depth=2
	s_mov_b32 s24, 0
	s_branch .LBB5_55
.LBB5_53:                               ;   in Loop: Header=BB5_32 Depth=2
	v_mov_b32_e32 v26, 0
	v_mov_b32_e32 v27, 0
.LBB5_54:                               ;   in Loop: Header=BB5_32 Depth=2
	s_mov_b64 s[0:1], s[20:21]
	s_mov_b32 s24, 0
	s_cbranch_execnz .LBB5_56
.LBB5_55:                               ;   in Loop: Header=BB5_32 Depth=2
	global_load_dwordx2 v[26:27], v3, s[20:21]
	s_add_i32 s24, s25, -8
.LBB5_56:                               ;   in Loop: Header=BB5_32 Depth=2
	s_add_u32 s20, s0, 8
	s_addc_u32 s21, s1, 0
	s_cmp_gt_u32 s24, 7
	s_cbranch_scc1 .LBB5_60
; %bb.57:                               ;   in Loop: Header=BB5_32 Depth=2
	s_cmp_eq_u32 s24, 0
	s_cbranch_scc1 .LBB5_61
; %bb.58:                               ;   in Loop: Header=BB5_32 Depth=2
	v_mov_b32_e32 v28, 0
	s_mov_b64 s[20:21], 0
	v_mov_b32_e32 v29, 0
	s_mov_b64 s[22:23], 0
.LBB5_59:                               ;   Parent Loop BB5_3 Depth=1
                                        ;     Parent Loop BB5_32 Depth=2
                                        ; =>    This Inner Loop Header: Depth=3
	s_add_u32 s26, s0, s22
	s_addc_u32 s27, s1, s23
	global_load_ubyte v2, v3, s[26:27]
	s_add_u32 s22, s22, 1
	s_addc_u32 s23, s23, 0
	s_waitcnt vmcnt(0)
	v_and_b32_e32 v2, 0xffff, v2
	v_lshlrev_b64 v[4:5], s20, v[2:3]
	s_add_u32 s20, s20, 8
	s_addc_u32 s21, s21, 0
	v_or_b32_e32 v28, v4, v28
	s_cmp_lg_u32 s24, s22
	v_or_b32_e32 v29, v5, v29
	s_cbranch_scc1 .LBB5_59
	s_branch .LBB5_62
.LBB5_60:                               ;   in Loop: Header=BB5_32 Depth=2
                                        ; implicit-def: $vgpr28_vgpr29
	s_mov_b32 s25, 0
	s_branch .LBB5_63
.LBB5_61:                               ;   in Loop: Header=BB5_32 Depth=2
	v_mov_b32_e32 v28, 0
	v_mov_b32_e32 v29, 0
.LBB5_62:                               ;   in Loop: Header=BB5_32 Depth=2
	s_mov_b64 s[20:21], s[0:1]
	s_mov_b32 s25, 0
	s_cbranch_execnz .LBB5_64
.LBB5_63:                               ;   in Loop: Header=BB5_32 Depth=2
	global_load_dwordx2 v[28:29], v3, s[0:1]
	s_add_i32 s25, s24, -8
.LBB5_64:                               ;   in Loop: Header=BB5_32 Depth=2
	s_add_u32 s0, s20, 8
	s_addc_u32 s1, s21, 0
	s_cmp_gt_u32 s25, 7
	s_cbranch_scc1 .LBB5_68
; %bb.65:                               ;   in Loop: Header=BB5_32 Depth=2
	s_cmp_eq_u32 s25, 0
	s_cbranch_scc1 .LBB5_69
; %bb.66:                               ;   in Loop: Header=BB5_32 Depth=2
	v_mov_b32_e32 v30, 0
	s_mov_b64 s[0:1], 0
	v_mov_b32_e32 v31, 0
	s_mov_b64 s[22:23], 0
.LBB5_67:                               ;   Parent Loop BB5_3 Depth=1
                                        ;     Parent Loop BB5_32 Depth=2
                                        ; =>    This Inner Loop Header: Depth=3
	s_add_u32 s26, s20, s22
	s_addc_u32 s27, s21, s23
	global_load_ubyte v2, v3, s[26:27]
	s_add_u32 s22, s22, 1
	s_addc_u32 s23, s23, 0
	s_waitcnt vmcnt(0)
	v_and_b32_e32 v2, 0xffff, v2
	v_lshlrev_b64 v[4:5], s0, v[2:3]
	s_add_u32 s0, s0, 8
	s_addc_u32 s1, s1, 0
	v_or_b32_e32 v30, v4, v30
	s_cmp_lg_u32 s25, s22
	v_or_b32_e32 v31, v5, v31
	s_cbranch_scc1 .LBB5_67
	s_branch .LBB5_70
.LBB5_68:                               ;   in Loop: Header=BB5_32 Depth=2
	s_mov_b32 s24, 0
	s_branch .LBB5_71
.LBB5_69:                               ;   in Loop: Header=BB5_32 Depth=2
	v_mov_b32_e32 v30, 0
	v_mov_b32_e32 v31, 0
.LBB5_70:                               ;   in Loop: Header=BB5_32 Depth=2
	s_mov_b64 s[0:1], s[20:21]
	s_mov_b32 s24, 0
	s_cbranch_execnz .LBB5_72
.LBB5_71:                               ;   in Loop: Header=BB5_32 Depth=2
	global_load_dwordx2 v[30:31], v3, s[20:21]
	s_add_i32 s24, s25, -8
.LBB5_72:                               ;   in Loop: Header=BB5_32 Depth=2
	s_add_u32 s20, s0, 8
	s_addc_u32 s21, s1, 0
	s_cmp_gt_u32 s24, 7
	s_cbranch_scc1 .LBB5_76
; %bb.73:                               ;   in Loop: Header=BB5_32 Depth=2
	s_cmp_eq_u32 s24, 0
	s_cbranch_scc1 .LBB5_77
; %bb.74:                               ;   in Loop: Header=BB5_32 Depth=2
	v_mov_b32_e32 v32, 0
	s_mov_b64 s[20:21], 0
	v_mov_b32_e32 v33, 0
	s_mov_b64 s[22:23], 0
.LBB5_75:                               ;   Parent Loop BB5_3 Depth=1
                                        ;     Parent Loop BB5_32 Depth=2
                                        ; =>    This Inner Loop Header: Depth=3
	s_add_u32 s26, s0, s22
	s_addc_u32 s27, s1, s23
	global_load_ubyte v2, v3, s[26:27]
	s_add_u32 s22, s22, 1
	s_addc_u32 s23, s23, 0
	s_waitcnt vmcnt(0)
	v_and_b32_e32 v2, 0xffff, v2
	v_lshlrev_b64 v[4:5], s20, v[2:3]
	s_add_u32 s20, s20, 8
	s_addc_u32 s21, s21, 0
	v_or_b32_e32 v32, v4, v32
	s_cmp_lg_u32 s24, s22
	v_or_b32_e32 v33, v5, v33
	s_cbranch_scc1 .LBB5_75
	s_branch .LBB5_78
.LBB5_76:                               ;   in Loop: Header=BB5_32 Depth=2
                                        ; implicit-def: $vgpr32_vgpr33
	s_mov_b32 s25, 0
	s_branch .LBB5_79
.LBB5_77:                               ;   in Loop: Header=BB5_32 Depth=2
	v_mov_b32_e32 v32, 0
	v_mov_b32_e32 v33, 0
.LBB5_78:                               ;   in Loop: Header=BB5_32 Depth=2
	s_mov_b64 s[20:21], s[0:1]
	s_mov_b32 s25, 0
	s_cbranch_execnz .LBB5_80
.LBB5_79:                               ;   in Loop: Header=BB5_32 Depth=2
	global_load_dwordx2 v[32:33], v3, s[0:1]
	s_add_i32 s25, s24, -8
.LBB5_80:                               ;   in Loop: Header=BB5_32 Depth=2
	s_cmp_gt_u32 s25, 7
	s_cbranch_scc1 .LBB5_84
; %bb.81:                               ;   in Loop: Header=BB5_32 Depth=2
	s_cmp_eq_u32 s25, 0
	s_cbranch_scc1 .LBB5_85
; %bb.82:                               ;   in Loop: Header=BB5_32 Depth=2
	v_mov_b32_e32 v34, 0
	s_mov_b64 s[0:1], 0
	v_mov_b32_e32 v35, 0
	s_mov_b64 s[22:23], s[20:21]
.LBB5_83:                               ;   Parent Loop BB5_3 Depth=1
                                        ;     Parent Loop BB5_32 Depth=2
                                        ; =>    This Inner Loop Header: Depth=3
	global_load_ubyte v2, v3, s[22:23]
	s_add_i32 s25, s25, -1
	s_waitcnt vmcnt(0)
	v_and_b32_e32 v2, 0xffff, v2
	v_lshlrev_b64 v[4:5], s0, v[2:3]
	s_add_u32 s0, s0, 8
	s_addc_u32 s1, s1, 0
	s_add_u32 s22, s22, 1
	s_addc_u32 s23, s23, 0
	v_or_b32_e32 v34, v4, v34
	s_cmp_lg_u32 s25, 0
	v_or_b32_e32 v35, v5, v35
	s_cbranch_scc1 .LBB5_83
	s_branch .LBB5_86
.LBB5_84:                               ;   in Loop: Header=BB5_32 Depth=2
	s_branch .LBB5_87
.LBB5_85:                               ;   in Loop: Header=BB5_32 Depth=2
	v_mov_b32_e32 v34, 0
	v_mov_b32_e32 v35, 0
.LBB5_86:                               ;   in Loop: Header=BB5_32 Depth=2
	s_cbranch_execnz .LBB5_88
.LBB5_87:                               ;   in Loop: Header=BB5_32 Depth=2
	global_load_dwordx2 v[34:35], v3, s[20:21]
.LBB5_88:                               ;   in Loop: Header=BB5_32 Depth=2
	v_readfirstlane_b32 s0, v47
	v_mov_b32_e32 v4, 0
	v_mov_b32_e32 v5, 0
	v_cmp_eq_u32_e64 s[0:1], s0, v47
	s_and_saveexec_b64 s[20:21], s[0:1]
	s_cbranch_execz .LBB5_94
; %bb.89:                               ;   in Loop: Header=BB5_32 Depth=2
	global_load_dwordx2 v[38:39], v3, s[2:3] offset:24 glc
	s_waitcnt vmcnt(0)
	buffer_wbinvl1_vol
	global_load_dwordx2 v[4:5], v3, s[2:3] offset:40
	global_load_dwordx2 v[9:10], v3, s[2:3]
	s_waitcnt vmcnt(1)
	v_and_b32_e32 v2, v4, v38
	v_and_b32_e32 v4, v5, v39
	v_mul_lo_u32 v4, v4, 24
	v_mul_hi_u32 v5, v2, 24
	v_mul_lo_u32 v2, v2, 24
	v_add_u32_e32 v5, v5, v4
	s_waitcnt vmcnt(0)
	v_add_co_u32_e32 v4, vcc, v9, v2
	v_addc_co_u32_e32 v5, vcc, v10, v5, vcc
	global_load_dwordx2 v[36:37], v[4:5], off glc
	s_waitcnt vmcnt(0)
	global_atomic_cmpswap_x2 v[4:5], v3, v[36:39], s[2:3] offset:24 glc
	s_waitcnt vmcnt(0)
	buffer_wbinvl1_vol
	v_cmp_ne_u64_e32 vcc, v[4:5], v[38:39]
	s_and_saveexec_b64 s[22:23], vcc
	s_cbranch_execz .LBB5_93
; %bb.90:                               ;   in Loop: Header=BB5_32 Depth=2
	s_mov_b64 s[24:25], 0
.LBB5_91:                               ;   Parent Loop BB5_3 Depth=1
                                        ;     Parent Loop BB5_32 Depth=2
                                        ; =>    This Inner Loop Header: Depth=3
	s_sleep 1
	global_load_dwordx2 v[9:10], v3, s[2:3] offset:40
	global_load_dwordx2 v[36:37], v3, s[2:3]
	v_mov_b32_e32 v39, v5
	v_mov_b32_e32 v38, v4
	s_waitcnt vmcnt(1)
	v_and_b32_e32 v2, v9, v38
	s_waitcnt vmcnt(0)
	v_mad_u64_u32 v[4:5], s[26:27], v2, 24, v[36:37]
	v_and_b32_e32 v9, v10, v39
	v_mov_b32_e32 v2, v5
	v_mad_u64_u32 v[9:10], s[26:27], v9, 24, v[2:3]
	v_mov_b32_e32 v5, v9
	global_load_dwordx2 v[36:37], v[4:5], off glc
	s_waitcnt vmcnt(0)
	global_atomic_cmpswap_x2 v[4:5], v3, v[36:39], s[2:3] offset:24 glc
	s_waitcnt vmcnt(0)
	buffer_wbinvl1_vol
	v_cmp_eq_u64_e32 vcc, v[4:5], v[38:39]
	s_or_b64 s[24:25], vcc, s[24:25]
	s_andn2_b64 exec, exec, s[24:25]
	s_cbranch_execnz .LBB5_91
; %bb.92:                               ;   in Loop: Header=BB5_32 Depth=2
	s_or_b64 exec, exec, s[24:25]
.LBB5_93:                               ;   in Loop: Header=BB5_32 Depth=2
	s_or_b64 exec, exec, s[22:23]
.LBB5_94:                               ;   in Loop: Header=BB5_32 Depth=2
	s_or_b64 exec, exec, s[20:21]
	global_load_dwordx2 v[9:10], v3, s[2:3] offset:40
	global_load_dwordx4 v[36:39], v3, s[2:3]
	v_readfirstlane_b32 s21, v5
	v_readfirstlane_b32 s20, v4
	s_mov_b64 s[22:23], exec
	s_waitcnt vmcnt(1)
	v_readfirstlane_b32 s24, v9
	v_readfirstlane_b32 s25, v10
	s_and_b64 s[24:25], s[24:25], s[20:21]
	s_mul_i32 s26, s25, 24
	s_mul_hi_u32 s27, s24, 24
	s_mul_i32 s33, s24, 24
	s_add_i32 s26, s27, s26
	v_mov_b32_e32 v2, s26
	s_waitcnt vmcnt(0)
	v_add_co_u32_e32 v9, vcc, s33, v36
	v_addc_co_u32_e32 v10, vcc, v37, v2, vcc
	s_and_saveexec_b64 s[26:27], s[0:1]
	s_cbranch_execz .LBB5_96
; %bb.95:                               ;   in Loop: Header=BB5_32 Depth=2
	v_mov_b32_e32 v4, s22
	v_mov_b32_e32 v5, s23
	global_store_dwordx4 v[9:10], v[4:7], off offset:8
.LBB5_96:                               ;   in Loop: Header=BB5_32 Depth=2
	s_or_b64 exec, exec, s[26:27]
	s_lshl_b64 s[22:23], s[24:25], 12
	v_mov_b32_e32 v2, s23
	v_add_co_u32_e32 v38, vcc, s22, v38
	v_addc_co_u32_e32 v39, vcc, v39, v2, vcc
	v_cmp_lt_u64_e64 vcc, s[16:17], 57
	s_lshl_b32 s22, s18, 2
	v_cndmask_b32_e32 v2, 0, v40, vcc
	s_add_i32 s22, s22, 28
	v_and_b32_e32 v4, 0xffffff1f, v20
	s_and_b32 s22, s22, 0x1e0
	v_or_b32_e32 v2, v4, v2
	v_or_b32_e32 v20, s22, v2
	v_readfirstlane_b32 s22, v38
	v_readfirstlane_b32 s23, v39
	s_nop 4
	global_store_dwordx4 v53, v[20:23], s[22:23]
	global_store_dwordx4 v53, v[24:27], s[22:23] offset:16
	global_store_dwordx4 v53, v[28:31], s[22:23] offset:32
	;; [unrolled: 1-line block ×3, first 2 shown]
	s_and_saveexec_b64 s[22:23], s[0:1]
	s_cbranch_execz .LBB5_104
; %bb.97:                               ;   in Loop: Header=BB5_32 Depth=2
	global_load_dwordx2 v[24:25], v3, s[2:3] offset:32 glc
	global_load_dwordx2 v[4:5], v3, s[2:3] offset:40
	v_mov_b32_e32 v22, s20
	v_mov_b32_e32 v23, s21
	s_waitcnt vmcnt(0)
	v_readfirstlane_b32 s24, v4
	v_readfirstlane_b32 s25, v5
	s_and_b64 s[24:25], s[24:25], s[20:21]
	s_mul_i32 s25, s25, 24
	s_mul_hi_u32 s26, s24, 24
	s_mul_i32 s24, s24, 24
	s_add_i32 s25, s26, s25
	v_mov_b32_e32 v2, s25
	v_add_co_u32_e32 v4, vcc, s24, v36
	v_addc_co_u32_e32 v5, vcc, v37, v2, vcc
	global_store_dwordx2 v[4:5], v[24:25], off
	s_waitcnt vmcnt(0)
	global_atomic_cmpswap_x2 v[22:23], v3, v[22:25], s[2:3] offset:32 glc
	s_waitcnt vmcnt(0)
	v_cmp_ne_u64_e32 vcc, v[22:23], v[24:25]
	s_and_saveexec_b64 s[24:25], vcc
	s_cbranch_execz .LBB5_100
; %bb.98:                               ;   in Loop: Header=BB5_32 Depth=2
	s_mov_b64 s[26:27], 0
.LBB5_99:                               ;   Parent Loop BB5_3 Depth=1
                                        ;     Parent Loop BB5_32 Depth=2
                                        ; =>    This Inner Loop Header: Depth=3
	s_sleep 1
	global_store_dwordx2 v[4:5], v[22:23], off
	v_mov_b32_e32 v20, s20
	v_mov_b32_e32 v21, s21
	s_waitcnt vmcnt(0)
	global_atomic_cmpswap_x2 v[20:21], v3, v[20:23], s[2:3] offset:32 glc
	s_waitcnt vmcnt(0)
	v_cmp_eq_u64_e32 vcc, v[20:21], v[22:23]
	v_mov_b32_e32 v23, v21
	s_or_b64 s[26:27], vcc, s[26:27]
	v_mov_b32_e32 v22, v20
	s_andn2_b64 exec, exec, s[26:27]
	s_cbranch_execnz .LBB5_99
.LBB5_100:                              ;   in Loop: Header=BB5_32 Depth=2
	s_or_b64 exec, exec, s[24:25]
	global_load_dwordx2 v[4:5], v3, s[2:3] offset:16
	s_mov_b64 s[26:27], exec
	v_mbcnt_lo_u32_b32 v2, s26, 0
	v_mbcnt_hi_u32_b32 v2, s27, v2
	v_cmp_eq_u32_e32 vcc, 0, v2
	s_and_saveexec_b64 s[24:25], vcc
	s_cbranch_execz .LBB5_102
; %bb.101:                              ;   in Loop: Header=BB5_32 Depth=2
	s_bcnt1_i32_b64 s26, s[26:27]
	v_mov_b32_e32 v2, s26
	s_waitcnt vmcnt(0)
	global_atomic_add_x2 v[4:5], v[2:3], off offset:8
.LBB5_102:                              ;   in Loop: Header=BB5_32 Depth=2
	s_or_b64 exec, exec, s[24:25]
	s_waitcnt vmcnt(0)
	global_load_dwordx2 v[20:21], v[4:5], off offset:16
	s_waitcnt vmcnt(0)
	v_cmp_eq_u64_e32 vcc, 0, v[20:21]
	s_cbranch_vccnz .LBB5_104
; %bb.103:                              ;   in Loop: Header=BB5_32 Depth=2
	global_load_dword v2, v[4:5], off offset:24
	s_waitcnt vmcnt(0)
	v_readfirstlane_b32 s24, v2
	s_and_b32 m0, s24, 0xffffff
	global_store_dwordx2 v[20:21], v[2:3], off
	s_sendmsg sendmsg(MSG_INTERRUPT)
.LBB5_104:                              ;   in Loop: Header=BB5_32 Depth=2
	s_or_b64 exec, exec, s[22:23]
	v_add_co_u32_e32 v4, vcc, v38, v53
	v_addc_co_u32_e32 v5, vcc, 0, v39, vcc
	s_branch .LBB5_108
.LBB5_105:                              ;   in Loop: Header=BB5_108 Depth=3
	s_or_b64 exec, exec, s[22:23]
	v_readfirstlane_b32 s22, v2
	s_cmp_eq_u32 s22, 0
	s_cbranch_scc1 .LBB5_107
; %bb.106:                              ;   in Loop: Header=BB5_108 Depth=3
	s_sleep 1
	s_cbranch_execnz .LBB5_108
	s_branch .LBB5_110
.LBB5_107:                              ;   in Loop: Header=BB5_32 Depth=2
	s_branch .LBB5_110
.LBB5_108:                              ;   Parent Loop BB5_3 Depth=1
                                        ;     Parent Loop BB5_32 Depth=2
                                        ; =>    This Inner Loop Header: Depth=3
	v_mov_b32_e32 v2, 1
	s_and_saveexec_b64 s[22:23], s[0:1]
	s_cbranch_execz .LBB5_105
; %bb.109:                              ;   in Loop: Header=BB5_108 Depth=3
	global_load_dword v2, v[9:10], off offset:20 glc
	s_waitcnt vmcnt(0)
	buffer_wbinvl1_vol
	v_and_b32_e32 v2, 1, v2
	s_branch .LBB5_105
.LBB5_110:                              ;   in Loop: Header=BB5_32 Depth=2
	global_load_dwordx2 v[20:21], v[4:5], off
	s_and_saveexec_b64 s[22:23], s[0:1]
	s_cbranch_execz .LBB5_31
; %bb.111:                              ;   in Loop: Header=BB5_32 Depth=2
	global_load_dwordx2 v[4:5], v3, s[2:3] offset:40
	global_load_dwordx2 v[26:27], v3, s[2:3] offset:24 glc
	global_load_dwordx2 v[9:10], v3, s[2:3]
	s_waitcnt vmcnt(2)
	v_readfirstlane_b32 s24, v4
	v_readfirstlane_b32 s25, v5
	s_add_u32 s26, s24, 1
	s_addc_u32 s27, s25, 0
	s_add_u32 s0, s26, s20
	s_addc_u32 s1, s27, s21
	s_cmp_eq_u64 s[0:1], 0
	s_cselect_b32 s1, s27, s1
	s_cselect_b32 s0, s26, s0
	s_and_b64 s[20:21], s[0:1], s[24:25]
	s_mul_i32 s21, s21, 24
	s_mul_hi_u32 s24, s20, 24
	s_mul_i32 s20, s20, 24
	s_add_i32 s21, s24, s21
	v_mov_b32_e32 v2, s21
	s_waitcnt vmcnt(0)
	v_add_co_u32_e32 v4, vcc, s20, v9
	v_addc_co_u32_e32 v5, vcc, v10, v2, vcc
	v_mov_b32_e32 v24, s0
	global_store_dwordx2 v[4:5], v[26:27], off
	v_mov_b32_e32 v25, s1
	s_waitcnt vmcnt(0)
	global_atomic_cmpswap_x2 v[24:25], v3, v[24:27], s[2:3] offset:24 glc
	s_waitcnt vmcnt(0)
	v_cmp_ne_u64_e32 vcc, v[24:25], v[26:27]
	s_and_b64 exec, exec, vcc
	s_cbranch_execz .LBB5_31
; %bb.112:                              ;   in Loop: Header=BB5_32 Depth=2
	s_mov_b64 s[20:21], 0
.LBB5_113:                              ;   Parent Loop BB5_3 Depth=1
                                        ;     Parent Loop BB5_32 Depth=2
                                        ; =>    This Inner Loop Header: Depth=3
	s_sleep 1
	global_store_dwordx2 v[4:5], v[24:25], off
	v_mov_b32_e32 v22, s0
	v_mov_b32_e32 v23, s1
	s_waitcnt vmcnt(0)
	global_atomic_cmpswap_x2 v[9:10], v3, v[22:25], s[2:3] offset:24 glc
	s_waitcnt vmcnt(0)
	v_cmp_eq_u64_e32 vcc, v[9:10], v[24:25]
	v_mov_b32_e32 v25, v10
	s_or_b64 s[20:21], vcc, s[20:21]
	v_mov_b32_e32 v24, v9
	s_andn2_b64 exec, exec, s[20:21]
	s_cbranch_execnz .LBB5_113
	s_branch .LBB5_31
.LBB5_114:                              ;   in Loop: Header=BB5_3 Depth=1
.LBB5_115:                              ;   in Loop: Header=BB5_3 Depth=1
	s_and_b64 vcc, exec, s[12:13]
	s_cbranch_vccz .LBB5_229
.LBB5_116:                              ;   in Loop: Header=BB5_3 Depth=1
	s_waitcnt vmcnt(0)
	v_and_b32_e32 v43, 2, v20
	v_and_b32_e32 v22, -3, v20
	v_mov_b32_e32 v23, v21
	s_mov_b64 s[16:17], 45
	s_getpc_b64 s[14:15]
	s_add_u32 s14, s14, .str.6@rel32@lo+4
	s_addc_u32 s15, s15, .str.6@rel32@hi+12
	s_branch .LBB5_118
.LBB5_117:                              ;   in Loop: Header=BB5_118 Depth=2
	s_or_b64 exec, exec, s[22:23]
	s_sub_u32 s16, s16, s18
	s_subb_u32 s17, s17, s19
	s_add_u32 s14, s14, s18
	s_addc_u32 s15, s15, s19
	s_cmp_lg_u64 s[16:17], 0
	s_cbranch_scc0 .LBB5_200
.LBB5_118:                              ;   Parent Loop BB5_3 Depth=1
                                        ; =>  This Loop Header: Depth=2
                                        ;       Child Loop BB5_121 Depth 3
                                        ;       Child Loop BB5_129 Depth 3
	;; [unrolled: 1-line block ×11, first 2 shown]
	v_cmp_lt_u64_e64 s[0:1], s[16:17], 56
	v_cmp_gt_u64_e64 s[20:21], s[16:17], 7
	s_and_b64 s[0:1], s[0:1], exec
	s_cselect_b32 s19, s17, 0
	s_cselect_b32 s18, s16, 56
	s_add_u32 s0, s14, 8
	s_addc_u32 s1, s15, 0
	s_and_b64 vcc, exec, s[20:21]
	s_cbranch_vccnz .LBB5_122
; %bb.119:                              ;   in Loop: Header=BB5_118 Depth=2
	s_cmp_eq_u64 s[16:17], 0
	s_cbranch_scc1 .LBB5_123
; %bb.120:                              ;   in Loop: Header=BB5_118 Depth=2
	v_mov_b32_e32 v24, 0
	s_lshl_b64 s[0:1], s[18:19], 3
	s_mov_b64 s[20:21], 0
	v_mov_b32_e32 v25, 0
	s_mov_b64 s[22:23], s[14:15]
.LBB5_121:                              ;   Parent Loop BB5_3 Depth=1
                                        ;     Parent Loop BB5_118 Depth=2
                                        ; =>    This Inner Loop Header: Depth=3
	global_load_ubyte v0, v3, s[22:23]
	s_waitcnt vmcnt(0)
	v_and_b32_e32 v2, 0xffff, v0
	v_lshlrev_b64 v[0:1], s20, v[2:3]
	s_add_u32 s20, s20, 8
	s_addc_u32 s21, s21, 0
	s_add_u32 s22, s22, 1
	s_addc_u32 s23, s23, 0
	v_or_b32_e32 v24, v0, v24
	s_cmp_lg_u32 s0, s20
	v_or_b32_e32 v25, v1, v25
	s_cbranch_scc1 .LBB5_121
	s_branch .LBB5_124
.LBB5_122:                              ;   in Loop: Header=BB5_118 Depth=2
	s_mov_b32 s24, 0
	s_branch .LBB5_125
.LBB5_123:                              ;   in Loop: Header=BB5_118 Depth=2
	v_mov_b32_e32 v24, 0
	v_mov_b32_e32 v25, 0
.LBB5_124:                              ;   in Loop: Header=BB5_118 Depth=2
	s_mov_b64 s[0:1], s[14:15]
	s_mov_b32 s24, 0
	s_cbranch_execnz .LBB5_126
.LBB5_125:                              ;   in Loop: Header=BB5_118 Depth=2
	global_load_dwordx2 v[24:25], v3, s[14:15]
	s_add_i32 s24, s18, -8
.LBB5_126:                              ;   in Loop: Header=BB5_118 Depth=2
	s_add_u32 s20, s0, 8
	s_addc_u32 s21, s1, 0
	s_cmp_gt_u32 s24, 7
	s_cbranch_scc1 .LBB5_130
; %bb.127:                              ;   in Loop: Header=BB5_118 Depth=2
	s_cmp_eq_u32 s24, 0
	s_cbranch_scc1 .LBB5_131
; %bb.128:                              ;   in Loop: Header=BB5_118 Depth=2
	v_mov_b32_e32 v26, 0
	s_mov_b64 s[20:21], 0
	v_mov_b32_e32 v27, 0
	s_mov_b64 s[22:23], 0
.LBB5_129:                              ;   Parent Loop BB5_3 Depth=1
                                        ;     Parent Loop BB5_118 Depth=2
                                        ; =>    This Inner Loop Header: Depth=3
	s_add_u32 s26, s0, s22
	s_addc_u32 s27, s1, s23
	global_load_ubyte v0, v3, s[26:27]
	s_add_u32 s22, s22, 1
	s_addc_u32 s23, s23, 0
	s_waitcnt vmcnt(0)
	v_and_b32_e32 v2, 0xffff, v0
	v_lshlrev_b64 v[0:1], s20, v[2:3]
	s_add_u32 s20, s20, 8
	s_addc_u32 s21, s21, 0
	v_or_b32_e32 v26, v0, v26
	s_cmp_lg_u32 s24, s22
	v_or_b32_e32 v27, v1, v27
	s_cbranch_scc1 .LBB5_129
	s_branch .LBB5_132
.LBB5_130:                              ;   in Loop: Header=BB5_118 Depth=2
                                        ; implicit-def: $vgpr26_vgpr27
	s_mov_b32 s25, 0
	s_branch .LBB5_133
.LBB5_131:                              ;   in Loop: Header=BB5_118 Depth=2
	v_mov_b32_e32 v26, 0
	v_mov_b32_e32 v27, 0
.LBB5_132:                              ;   in Loop: Header=BB5_118 Depth=2
	s_mov_b64 s[20:21], s[0:1]
	s_mov_b32 s25, 0
	s_cbranch_execnz .LBB5_134
.LBB5_133:                              ;   in Loop: Header=BB5_118 Depth=2
	global_load_dwordx2 v[26:27], v3, s[0:1]
	s_add_i32 s25, s24, -8
.LBB5_134:                              ;   in Loop: Header=BB5_118 Depth=2
	s_add_u32 s0, s20, 8
	s_addc_u32 s1, s21, 0
	s_cmp_gt_u32 s25, 7
	s_cbranch_scc1 .LBB5_138
; %bb.135:                              ;   in Loop: Header=BB5_118 Depth=2
	s_cmp_eq_u32 s25, 0
	s_cbranch_scc1 .LBB5_139
; %bb.136:                              ;   in Loop: Header=BB5_118 Depth=2
	v_mov_b32_e32 v28, 0
	s_mov_b64 s[0:1], 0
	v_mov_b32_e32 v29, 0
	s_mov_b64 s[22:23], 0
.LBB5_137:                              ;   Parent Loop BB5_3 Depth=1
                                        ;     Parent Loop BB5_118 Depth=2
                                        ; =>    This Inner Loop Header: Depth=3
	s_add_u32 s26, s20, s22
	s_addc_u32 s27, s21, s23
	global_load_ubyte v0, v3, s[26:27]
	s_add_u32 s22, s22, 1
	s_addc_u32 s23, s23, 0
	s_waitcnt vmcnt(0)
	v_and_b32_e32 v2, 0xffff, v0
	v_lshlrev_b64 v[0:1], s0, v[2:3]
	s_add_u32 s0, s0, 8
	s_addc_u32 s1, s1, 0
	v_or_b32_e32 v28, v0, v28
	s_cmp_lg_u32 s25, s22
	v_or_b32_e32 v29, v1, v29
	s_cbranch_scc1 .LBB5_137
	s_branch .LBB5_140
.LBB5_138:                              ;   in Loop: Header=BB5_118 Depth=2
	s_mov_b32 s24, 0
	s_branch .LBB5_141
.LBB5_139:                              ;   in Loop: Header=BB5_118 Depth=2
	v_mov_b32_e32 v28, 0
	v_mov_b32_e32 v29, 0
.LBB5_140:                              ;   in Loop: Header=BB5_118 Depth=2
	s_mov_b64 s[0:1], s[20:21]
	s_mov_b32 s24, 0
	s_cbranch_execnz .LBB5_142
.LBB5_141:                              ;   in Loop: Header=BB5_118 Depth=2
	global_load_dwordx2 v[28:29], v3, s[20:21]
	s_add_i32 s24, s25, -8
.LBB5_142:                              ;   in Loop: Header=BB5_118 Depth=2
	s_add_u32 s20, s0, 8
	s_addc_u32 s21, s1, 0
	s_cmp_gt_u32 s24, 7
	s_cbranch_scc1 .LBB5_146
; %bb.143:                              ;   in Loop: Header=BB5_118 Depth=2
	s_cmp_eq_u32 s24, 0
	s_cbranch_scc1 .LBB5_147
; %bb.144:                              ;   in Loop: Header=BB5_118 Depth=2
	v_mov_b32_e32 v30, 0
	s_mov_b64 s[20:21], 0
	v_mov_b32_e32 v31, 0
	s_mov_b64 s[22:23], 0
.LBB5_145:                              ;   Parent Loop BB5_3 Depth=1
                                        ;     Parent Loop BB5_118 Depth=2
                                        ; =>    This Inner Loop Header: Depth=3
	s_add_u32 s26, s0, s22
	s_addc_u32 s27, s1, s23
	global_load_ubyte v0, v3, s[26:27]
	s_add_u32 s22, s22, 1
	s_addc_u32 s23, s23, 0
	s_waitcnt vmcnt(0)
	v_and_b32_e32 v2, 0xffff, v0
	v_lshlrev_b64 v[0:1], s20, v[2:3]
	s_add_u32 s20, s20, 8
	s_addc_u32 s21, s21, 0
	v_or_b32_e32 v30, v0, v30
	s_cmp_lg_u32 s24, s22
	v_or_b32_e32 v31, v1, v31
	s_cbranch_scc1 .LBB5_145
	s_branch .LBB5_148
.LBB5_146:                              ;   in Loop: Header=BB5_118 Depth=2
                                        ; implicit-def: $vgpr30_vgpr31
	s_mov_b32 s25, 0
	s_branch .LBB5_149
.LBB5_147:                              ;   in Loop: Header=BB5_118 Depth=2
	v_mov_b32_e32 v30, 0
	v_mov_b32_e32 v31, 0
.LBB5_148:                              ;   in Loop: Header=BB5_118 Depth=2
	s_mov_b64 s[20:21], s[0:1]
	s_mov_b32 s25, 0
	s_cbranch_execnz .LBB5_150
.LBB5_149:                              ;   in Loop: Header=BB5_118 Depth=2
	global_load_dwordx2 v[30:31], v3, s[0:1]
	s_add_i32 s25, s24, -8
.LBB5_150:                              ;   in Loop: Header=BB5_118 Depth=2
	s_add_u32 s0, s20, 8
	s_addc_u32 s1, s21, 0
	s_cmp_gt_u32 s25, 7
	s_cbranch_scc1 .LBB5_154
; %bb.151:                              ;   in Loop: Header=BB5_118 Depth=2
	s_cmp_eq_u32 s25, 0
	s_cbranch_scc1 .LBB5_155
; %bb.152:                              ;   in Loop: Header=BB5_118 Depth=2
	v_mov_b32_e32 v32, 0
	s_mov_b64 s[0:1], 0
	v_mov_b32_e32 v33, 0
	s_mov_b64 s[22:23], 0
.LBB5_153:                              ;   Parent Loop BB5_3 Depth=1
                                        ;     Parent Loop BB5_118 Depth=2
                                        ; =>    This Inner Loop Header: Depth=3
	s_add_u32 s26, s20, s22
	s_addc_u32 s27, s21, s23
	global_load_ubyte v0, v3, s[26:27]
	s_add_u32 s22, s22, 1
	s_addc_u32 s23, s23, 0
	s_waitcnt vmcnt(0)
	v_and_b32_e32 v2, 0xffff, v0
	v_lshlrev_b64 v[0:1], s0, v[2:3]
	s_add_u32 s0, s0, 8
	s_addc_u32 s1, s1, 0
	v_or_b32_e32 v32, v0, v32
	s_cmp_lg_u32 s25, s22
	v_or_b32_e32 v33, v1, v33
	s_cbranch_scc1 .LBB5_153
	s_branch .LBB5_156
.LBB5_154:                              ;   in Loop: Header=BB5_118 Depth=2
	s_mov_b32 s24, 0
	s_branch .LBB5_157
.LBB5_155:                              ;   in Loop: Header=BB5_118 Depth=2
	v_mov_b32_e32 v32, 0
	v_mov_b32_e32 v33, 0
.LBB5_156:                              ;   in Loop: Header=BB5_118 Depth=2
	s_mov_b64 s[0:1], s[20:21]
	s_mov_b32 s24, 0
	s_cbranch_execnz .LBB5_158
.LBB5_157:                              ;   in Loop: Header=BB5_118 Depth=2
	global_load_dwordx2 v[32:33], v3, s[20:21]
	s_add_i32 s24, s25, -8
.LBB5_158:                              ;   in Loop: Header=BB5_118 Depth=2
	s_add_u32 s20, s0, 8
	s_addc_u32 s21, s1, 0
	s_cmp_gt_u32 s24, 7
	s_cbranch_scc1 .LBB5_162
; %bb.159:                              ;   in Loop: Header=BB5_118 Depth=2
	s_cmp_eq_u32 s24, 0
	s_cbranch_scc1 .LBB5_163
; %bb.160:                              ;   in Loop: Header=BB5_118 Depth=2
	v_mov_b32_e32 v34, 0
	s_mov_b64 s[20:21], 0
	v_mov_b32_e32 v35, 0
	s_mov_b64 s[22:23], 0
.LBB5_161:                              ;   Parent Loop BB5_3 Depth=1
                                        ;     Parent Loop BB5_118 Depth=2
                                        ; =>    This Inner Loop Header: Depth=3
	s_add_u32 s26, s0, s22
	s_addc_u32 s27, s1, s23
	global_load_ubyte v0, v3, s[26:27]
	s_add_u32 s22, s22, 1
	s_addc_u32 s23, s23, 0
	s_waitcnt vmcnt(0)
	v_and_b32_e32 v2, 0xffff, v0
	v_lshlrev_b64 v[0:1], s20, v[2:3]
	s_add_u32 s20, s20, 8
	s_addc_u32 s21, s21, 0
	v_or_b32_e32 v34, v0, v34
	s_cmp_lg_u32 s24, s22
	v_or_b32_e32 v35, v1, v35
	s_cbranch_scc1 .LBB5_161
	s_branch .LBB5_164
.LBB5_162:                              ;   in Loop: Header=BB5_118 Depth=2
                                        ; implicit-def: $vgpr34_vgpr35
	s_mov_b32 s25, 0
	s_branch .LBB5_165
.LBB5_163:                              ;   in Loop: Header=BB5_118 Depth=2
	v_mov_b32_e32 v34, 0
	v_mov_b32_e32 v35, 0
.LBB5_164:                              ;   in Loop: Header=BB5_118 Depth=2
	s_mov_b64 s[20:21], s[0:1]
	s_mov_b32 s25, 0
	s_cbranch_execnz .LBB5_166
.LBB5_165:                              ;   in Loop: Header=BB5_118 Depth=2
	global_load_dwordx2 v[34:35], v3, s[0:1]
	s_add_i32 s25, s24, -8
.LBB5_166:                              ;   in Loop: Header=BB5_118 Depth=2
	s_cmp_gt_u32 s25, 7
	s_cbranch_scc1 .LBB5_170
; %bb.167:                              ;   in Loop: Header=BB5_118 Depth=2
	s_cmp_eq_u32 s25, 0
	s_cbranch_scc1 .LBB5_171
; %bb.168:                              ;   in Loop: Header=BB5_118 Depth=2
	v_mov_b32_e32 v36, 0
	s_mov_b64 s[0:1], 0
	v_mov_b32_e32 v37, 0
	s_mov_b64 s[22:23], s[20:21]
.LBB5_169:                              ;   Parent Loop BB5_3 Depth=1
                                        ;     Parent Loop BB5_118 Depth=2
                                        ; =>    This Inner Loop Header: Depth=3
	global_load_ubyte v0, v3, s[22:23]
	s_add_i32 s25, s25, -1
	s_waitcnt vmcnt(0)
	v_and_b32_e32 v2, 0xffff, v0
	v_lshlrev_b64 v[0:1], s0, v[2:3]
	s_add_u32 s0, s0, 8
	s_addc_u32 s1, s1, 0
	s_add_u32 s22, s22, 1
	s_addc_u32 s23, s23, 0
	v_or_b32_e32 v36, v0, v36
	s_cmp_lg_u32 s25, 0
	v_or_b32_e32 v37, v1, v37
	s_cbranch_scc1 .LBB5_169
	s_branch .LBB5_172
.LBB5_170:                              ;   in Loop: Header=BB5_118 Depth=2
	s_branch .LBB5_173
.LBB5_171:                              ;   in Loop: Header=BB5_118 Depth=2
	v_mov_b32_e32 v36, 0
	v_mov_b32_e32 v37, 0
.LBB5_172:                              ;   in Loop: Header=BB5_118 Depth=2
	s_cbranch_execnz .LBB5_174
.LBB5_173:                              ;   in Loop: Header=BB5_118 Depth=2
	global_load_dwordx2 v[36:37], v3, s[20:21]
.LBB5_174:                              ;   in Loop: Header=BB5_118 Depth=2
	v_readfirstlane_b32 s0, v47
	v_mov_b32_e32 v0, 0
	v_mov_b32_e32 v1, 0
	v_cmp_eq_u32_e64 s[0:1], s0, v47
	s_and_saveexec_b64 s[20:21], s[0:1]
	s_cbranch_execz .LBB5_180
; %bb.175:                              ;   in Loop: Header=BB5_118 Depth=2
	global_load_dwordx2 v[40:41], v3, s[2:3] offset:24 glc
	s_waitcnt vmcnt(0)
	buffer_wbinvl1_vol
	global_load_dwordx2 v[0:1], v3, s[2:3] offset:40
	global_load_dwordx2 v[4:5], v3, s[2:3]
	s_waitcnt vmcnt(1)
	v_and_b32_e32 v0, v0, v40
	v_and_b32_e32 v1, v1, v41
	v_mul_lo_u32 v1, v1, 24
	v_mul_hi_u32 v2, v0, 24
	v_mul_lo_u32 v0, v0, 24
	v_add_u32_e32 v1, v2, v1
	s_waitcnt vmcnt(0)
	v_add_co_u32_e32 v0, vcc, v4, v0
	v_addc_co_u32_e32 v1, vcc, v5, v1, vcc
	global_load_dwordx2 v[38:39], v[0:1], off glc
	s_waitcnt vmcnt(0)
	global_atomic_cmpswap_x2 v[0:1], v3, v[38:41], s[2:3] offset:24 glc
	s_waitcnt vmcnt(0)
	buffer_wbinvl1_vol
	v_cmp_ne_u64_e32 vcc, v[0:1], v[40:41]
	s_and_saveexec_b64 s[22:23], vcc
	s_cbranch_execz .LBB5_179
; %bb.176:                              ;   in Loop: Header=BB5_118 Depth=2
	s_mov_b64 s[24:25], 0
.LBB5_177:                              ;   Parent Loop BB5_3 Depth=1
                                        ;     Parent Loop BB5_118 Depth=2
                                        ; =>    This Inner Loop Header: Depth=3
	s_sleep 1
	global_load_dwordx2 v[4:5], v3, s[2:3] offset:40
	global_load_dwordx2 v[9:10], v3, s[2:3]
	v_mov_b32_e32 v41, v1
	v_mov_b32_e32 v40, v0
	s_waitcnt vmcnt(1)
	v_and_b32_e32 v0, v4, v40
	s_waitcnt vmcnt(0)
	v_mad_u64_u32 v[0:1], s[26:27], v0, 24, v[9:10]
	v_and_b32_e32 v2, v5, v41
	v_mad_u64_u32 v[1:2], s[26:27], v2, 24, v[1:2]
	global_load_dwordx2 v[38:39], v[0:1], off glc
	s_waitcnt vmcnt(0)
	global_atomic_cmpswap_x2 v[0:1], v3, v[38:41], s[2:3] offset:24 glc
	s_waitcnt vmcnt(0)
	buffer_wbinvl1_vol
	v_cmp_eq_u64_e32 vcc, v[0:1], v[40:41]
	s_or_b64 s[24:25], vcc, s[24:25]
	s_andn2_b64 exec, exec, s[24:25]
	s_cbranch_execnz .LBB5_177
; %bb.178:                              ;   in Loop: Header=BB5_118 Depth=2
	s_or_b64 exec, exec, s[24:25]
.LBB5_179:                              ;   in Loop: Header=BB5_118 Depth=2
	s_or_b64 exec, exec, s[22:23]
.LBB5_180:                              ;   in Loop: Header=BB5_118 Depth=2
	s_or_b64 exec, exec, s[20:21]
	global_load_dwordx2 v[4:5], v3, s[2:3] offset:40
	global_load_dwordx4 v[38:41], v3, s[2:3]
	v_readfirstlane_b32 s21, v1
	v_readfirstlane_b32 s20, v0
	s_mov_b64 s[22:23], exec
	s_waitcnt vmcnt(1)
	v_readfirstlane_b32 s24, v4
	v_readfirstlane_b32 s25, v5
	s_and_b64 s[24:25], s[24:25], s[20:21]
	s_mul_i32 s26, s25, 24
	s_mul_hi_u32 s27, s24, 24
	s_mul_i32 s33, s24, 24
	s_add_i32 s26, s27, s26
	v_mov_b32_e32 v1, s26
	s_waitcnt vmcnt(0)
	v_add_co_u32_e32 v0, vcc, s33, v38
	v_addc_co_u32_e32 v1, vcc, v39, v1, vcc
	s_and_saveexec_b64 s[26:27], s[0:1]
	s_cbranch_execz .LBB5_182
; %bb.181:                              ;   in Loop: Header=BB5_118 Depth=2
	v_mov_b32_e32 v4, s22
	v_mov_b32_e32 v5, s23
	global_store_dwordx4 v[0:1], v[4:7], off offset:8
.LBB5_182:                              ;   in Loop: Header=BB5_118 Depth=2
	s_or_b64 exec, exec, s[26:27]
	s_lshl_b64 s[22:23], s[24:25], 12
	v_mov_b32_e32 v2, s23
	v_add_co_u32_e32 v40, vcc, s22, v40
	v_addc_co_u32_e32 v41, vcc, v41, v2, vcc
	v_cmp_lt_u64_e64 vcc, s[16:17], 57
	s_lshl_b32 s22, s18, 2
	v_cndmask_b32_e32 v2, 0, v43, vcc
	s_add_i32 s22, s22, 28
	v_and_b32_e32 v4, 0xffffff1f, v22
	s_and_b32 s22, s22, 0x1e0
	v_or_b32_e32 v2, v4, v2
	v_or_b32_e32 v22, s22, v2
	v_readfirstlane_b32 s22, v40
	v_readfirstlane_b32 s23, v41
	s_nop 4
	global_store_dwordx4 v53, v[22:25], s[22:23]
	global_store_dwordx4 v53, v[26:29], s[22:23] offset:16
	global_store_dwordx4 v53, v[30:33], s[22:23] offset:32
	;; [unrolled: 1-line block ×3, first 2 shown]
	s_and_saveexec_b64 s[22:23], s[0:1]
	s_cbranch_execz .LBB5_190
; %bb.183:                              ;   in Loop: Header=BB5_118 Depth=2
	global_load_dwordx2 v[26:27], v3, s[2:3] offset:32 glc
	global_load_dwordx2 v[4:5], v3, s[2:3] offset:40
	v_mov_b32_e32 v24, s20
	v_mov_b32_e32 v25, s21
	s_waitcnt vmcnt(0)
	v_readfirstlane_b32 s24, v4
	v_readfirstlane_b32 s25, v5
	s_and_b64 s[24:25], s[24:25], s[20:21]
	s_mul_i32 s25, s25, 24
	s_mul_hi_u32 s26, s24, 24
	s_mul_i32 s24, s24, 24
	s_add_i32 s25, s26, s25
	v_mov_b32_e32 v2, s25
	v_add_co_u32_e32 v4, vcc, s24, v38
	v_addc_co_u32_e32 v5, vcc, v39, v2, vcc
	global_store_dwordx2 v[4:5], v[26:27], off
	s_waitcnt vmcnt(0)
	global_atomic_cmpswap_x2 v[24:25], v3, v[24:27], s[2:3] offset:32 glc
	s_waitcnt vmcnt(0)
	v_cmp_ne_u64_e32 vcc, v[24:25], v[26:27]
	s_and_saveexec_b64 s[24:25], vcc
	s_cbranch_execz .LBB5_186
; %bb.184:                              ;   in Loop: Header=BB5_118 Depth=2
	s_mov_b64 s[26:27], 0
.LBB5_185:                              ;   Parent Loop BB5_3 Depth=1
                                        ;     Parent Loop BB5_118 Depth=2
                                        ; =>    This Inner Loop Header: Depth=3
	s_sleep 1
	global_store_dwordx2 v[4:5], v[24:25], off
	v_mov_b32_e32 v22, s20
	v_mov_b32_e32 v23, s21
	s_waitcnt vmcnt(0)
	global_atomic_cmpswap_x2 v[9:10], v3, v[22:25], s[2:3] offset:32 glc
	s_waitcnt vmcnt(0)
	v_cmp_eq_u64_e32 vcc, v[9:10], v[24:25]
	v_mov_b32_e32 v25, v10
	s_or_b64 s[26:27], vcc, s[26:27]
	v_mov_b32_e32 v24, v9
	s_andn2_b64 exec, exec, s[26:27]
	s_cbranch_execnz .LBB5_185
.LBB5_186:                              ;   in Loop: Header=BB5_118 Depth=2
	s_or_b64 exec, exec, s[24:25]
	global_load_dwordx2 v[4:5], v3, s[2:3] offset:16
	s_mov_b64 s[26:27], exec
	v_mbcnt_lo_u32_b32 v2, s26, 0
	v_mbcnt_hi_u32_b32 v2, s27, v2
	v_cmp_eq_u32_e32 vcc, 0, v2
	s_and_saveexec_b64 s[24:25], vcc
	s_cbranch_execz .LBB5_188
; %bb.187:                              ;   in Loop: Header=BB5_118 Depth=2
	s_bcnt1_i32_b64 s26, s[26:27]
	v_mov_b32_e32 v2, s26
	s_waitcnt vmcnt(0)
	global_atomic_add_x2 v[4:5], v[2:3], off offset:8
.LBB5_188:                              ;   in Loop: Header=BB5_118 Depth=2
	s_or_b64 exec, exec, s[24:25]
	s_waitcnt vmcnt(0)
	global_load_dwordx2 v[9:10], v[4:5], off offset:16
	s_waitcnt vmcnt(0)
	v_cmp_eq_u64_e32 vcc, 0, v[9:10]
	s_cbranch_vccnz .LBB5_190
; %bb.189:                              ;   in Loop: Header=BB5_118 Depth=2
	global_load_dword v2, v[4:5], off offset:24
	s_waitcnt vmcnt(0)
	v_readfirstlane_b32 s24, v2
	s_and_b32 m0, s24, 0xffffff
	global_store_dwordx2 v[9:10], v[2:3], off
	s_sendmsg sendmsg(MSG_INTERRUPT)
.LBB5_190:                              ;   in Loop: Header=BB5_118 Depth=2
	s_or_b64 exec, exec, s[22:23]
	v_add_co_u32_e32 v4, vcc, v40, v53
	v_addc_co_u32_e32 v5, vcc, 0, v41, vcc
	s_branch .LBB5_194
.LBB5_191:                              ;   in Loop: Header=BB5_194 Depth=3
	s_or_b64 exec, exec, s[22:23]
	v_readfirstlane_b32 s22, v2
	s_cmp_eq_u32 s22, 0
	s_cbranch_scc1 .LBB5_193
; %bb.192:                              ;   in Loop: Header=BB5_194 Depth=3
	s_sleep 1
	s_cbranch_execnz .LBB5_194
	s_branch .LBB5_196
.LBB5_193:                              ;   in Loop: Header=BB5_118 Depth=2
	s_branch .LBB5_196
.LBB5_194:                              ;   Parent Loop BB5_3 Depth=1
                                        ;     Parent Loop BB5_118 Depth=2
                                        ; =>    This Inner Loop Header: Depth=3
	v_mov_b32_e32 v2, 1
	s_and_saveexec_b64 s[22:23], s[0:1]
	s_cbranch_execz .LBB5_191
; %bb.195:                              ;   in Loop: Header=BB5_194 Depth=3
	global_load_dword v2, v[0:1], off offset:20 glc
	s_waitcnt vmcnt(0)
	buffer_wbinvl1_vol
	v_and_b32_e32 v2, 1, v2
	s_branch .LBB5_191
.LBB5_196:                              ;   in Loop: Header=BB5_118 Depth=2
	global_load_dwordx2 v[22:23], v[4:5], off
	s_and_saveexec_b64 s[22:23], s[0:1]
	s_cbranch_execz .LBB5_117
; %bb.197:                              ;   in Loop: Header=BB5_118 Depth=2
	global_load_dwordx2 v[0:1], v3, s[2:3] offset:40
	global_load_dwordx2 v[28:29], v3, s[2:3] offset:24 glc
	global_load_dwordx2 v[4:5], v3, s[2:3]
	s_waitcnt vmcnt(2)
	v_readfirstlane_b32 s24, v0
	v_readfirstlane_b32 s25, v1
	s_add_u32 s26, s24, 1
	s_addc_u32 s27, s25, 0
	s_add_u32 s0, s26, s20
	s_addc_u32 s1, s27, s21
	s_cmp_eq_u64 s[0:1], 0
	s_cselect_b32 s1, s27, s1
	s_cselect_b32 s0, s26, s0
	s_and_b64 s[20:21], s[0:1], s[24:25]
	s_mul_i32 s21, s21, 24
	s_mul_hi_u32 s24, s20, 24
	s_mul_i32 s20, s20, 24
	s_add_i32 s21, s24, s21
	v_mov_b32_e32 v1, s21
	s_waitcnt vmcnt(0)
	v_add_co_u32_e32 v0, vcc, s20, v4
	v_addc_co_u32_e32 v1, vcc, v5, v1, vcc
	v_mov_b32_e32 v26, s0
	global_store_dwordx2 v[0:1], v[28:29], off
	v_mov_b32_e32 v27, s1
	s_waitcnt vmcnt(0)
	global_atomic_cmpswap_x2 v[26:27], v3, v[26:29], s[2:3] offset:24 glc
	s_waitcnt vmcnt(0)
	v_cmp_ne_u64_e32 vcc, v[26:27], v[28:29]
	s_and_b64 exec, exec, vcc
	s_cbranch_execz .LBB5_117
; %bb.198:                              ;   in Loop: Header=BB5_118 Depth=2
	s_mov_b64 s[20:21], 0
.LBB5_199:                              ;   Parent Loop BB5_3 Depth=1
                                        ;     Parent Loop BB5_118 Depth=2
                                        ; =>    This Inner Loop Header: Depth=3
	s_sleep 1
	global_store_dwordx2 v[0:1], v[26:27], off
	v_mov_b32_e32 v24, s0
	v_mov_b32_e32 v25, s1
	s_waitcnt vmcnt(0)
	global_atomic_cmpswap_x2 v[4:5], v3, v[24:27], s[2:3] offset:24 glc
	s_waitcnt vmcnt(0)
	v_cmp_eq_u64_e32 vcc, v[4:5], v[26:27]
	v_mov_b32_e32 v27, v5
	s_or_b64 s[20:21], vcc, s[20:21]
	v_mov_b32_e32 v26, v4
	s_andn2_b64 exec, exec, s[20:21]
	s_cbranch_execnz .LBB5_199
	s_branch .LBB5_117
.LBB5_200:                              ;   in Loop: Header=BB5_3 Depth=1
	s_branch .LBB5_257
.LBB5_201:                              ;   in Loop: Header=BB5_3 Depth=1
                                        ; implicit-def: $vgpr20_vgpr21
	s_cbranch_execz .LBB5_115
; %bb.202:                              ;   in Loop: Header=BB5_3 Depth=1
	v_readfirstlane_b32 s0, v47
	v_mov_b32_e32 v4, 0
	v_mov_b32_e32 v5, 0
	v_cmp_eq_u32_e64 s[0:1], s0, v47
	s_and_saveexec_b64 s[14:15], s[0:1]
	s_cbranch_execz .LBB5_208
; %bb.203:                              ;   in Loop: Header=BB5_3 Depth=1
	global_load_dwordx2 v[22:23], v3, s[2:3] offset:24 glc
	s_waitcnt vmcnt(0)
	buffer_wbinvl1_vol
	global_load_dwordx2 v[4:5], v3, s[2:3] offset:40
	global_load_dwordx2 v[9:10], v3, s[2:3]
	s_waitcnt vmcnt(1)
	v_and_b32_e32 v2, v4, v22
	v_and_b32_e32 v4, v5, v23
	v_mul_lo_u32 v4, v4, 24
	v_mul_hi_u32 v5, v2, 24
	v_mul_lo_u32 v2, v2, 24
	v_add_u32_e32 v5, v5, v4
	s_waitcnt vmcnt(0)
	v_add_co_u32_e32 v4, vcc, v9, v2
	v_addc_co_u32_e32 v5, vcc, v10, v5, vcc
	global_load_dwordx2 v[20:21], v[4:5], off glc
	s_waitcnt vmcnt(0)
	global_atomic_cmpswap_x2 v[4:5], v3, v[20:23], s[2:3] offset:24 glc
	s_waitcnt vmcnt(0)
	buffer_wbinvl1_vol
	v_cmp_ne_u64_e32 vcc, v[4:5], v[22:23]
	s_and_saveexec_b64 s[16:17], vcc
	s_cbranch_execz .LBB5_207
; %bb.204:                              ;   in Loop: Header=BB5_3 Depth=1
	s_mov_b64 s[18:19], 0
.LBB5_205:                              ;   Parent Loop BB5_3 Depth=1
                                        ; =>  This Inner Loop Header: Depth=2
	s_sleep 1
	global_load_dwordx2 v[9:10], v3, s[2:3] offset:40
	global_load_dwordx2 v[20:21], v3, s[2:3]
	v_mov_b32_e32 v23, v5
	v_mov_b32_e32 v22, v4
	s_waitcnt vmcnt(1)
	v_and_b32_e32 v2, v9, v22
	s_waitcnt vmcnt(0)
	v_mad_u64_u32 v[4:5], s[20:21], v2, 24, v[20:21]
	v_and_b32_e32 v9, v10, v23
	v_mov_b32_e32 v2, v5
	v_mad_u64_u32 v[9:10], s[20:21], v9, 24, v[2:3]
	v_mov_b32_e32 v5, v9
	global_load_dwordx2 v[20:21], v[4:5], off glc
	s_waitcnt vmcnt(0)
	global_atomic_cmpswap_x2 v[4:5], v3, v[20:23], s[2:3] offset:24 glc
	s_waitcnt vmcnt(0)
	buffer_wbinvl1_vol
	v_cmp_eq_u64_e32 vcc, v[4:5], v[22:23]
	s_or_b64 s[18:19], vcc, s[18:19]
	s_andn2_b64 exec, exec, s[18:19]
	s_cbranch_execnz .LBB5_205
; %bb.206:                              ;   in Loop: Header=BB5_3 Depth=1
	s_or_b64 exec, exec, s[18:19]
.LBB5_207:                              ;   in Loop: Header=BB5_3 Depth=1
	s_or_b64 exec, exec, s[16:17]
.LBB5_208:                              ;   in Loop: Header=BB5_3 Depth=1
	s_or_b64 exec, exec, s[14:15]
	global_load_dwordx2 v[9:10], v3, s[2:3] offset:40
	global_load_dwordx4 v[20:23], v3, s[2:3]
	v_readfirstlane_b32 s15, v5
	v_readfirstlane_b32 s14, v4
	s_mov_b64 s[16:17], exec
	s_waitcnt vmcnt(1)
	v_readfirstlane_b32 s18, v9
	v_readfirstlane_b32 s19, v10
	s_and_b64 s[18:19], s[18:19], s[14:15]
	s_mul_i32 s20, s19, 24
	s_mul_hi_u32 s21, s18, 24
	s_mul_i32 s22, s18, 24
	s_add_i32 s20, s21, s20
	v_mov_b32_e32 v2, s20
	s_waitcnt vmcnt(0)
	v_add_co_u32_e32 v9, vcc, s22, v20
	v_addc_co_u32_e32 v10, vcc, v21, v2, vcc
	s_and_saveexec_b64 s[20:21], s[0:1]
	s_cbranch_execz .LBB5_210
; %bb.209:                              ;   in Loop: Header=BB5_3 Depth=1
	v_mov_b32_e32 v4, s16
	v_mov_b32_e32 v5, s17
	global_store_dwordx4 v[9:10], v[4:7], off offset:8
.LBB5_210:                              ;   in Loop: Header=BB5_3 Depth=1
	s_or_b64 exec, exec, s[20:21]
	s_lshl_b64 s[16:17], s[18:19], 12
	v_mov_b32_e32 v2, s17
	v_add_co_u32_e32 v24, vcc, s16, v22
	v_addc_co_u32_e32 v25, vcc, v23, v2, vcc
	v_mov_b32_e32 v29, s11
	v_and_or_b32 v0, v0, s29, 32
	v_mov_b32_e32 v2, v3
	v_readfirstlane_b32 s16, v24
	v_readfirstlane_b32 s17, v25
	v_mov_b32_e32 v28, s10
	v_mov_b32_e32 v27, s9
	;; [unrolled: 1-line block ×3, first 2 shown]
	s_nop 1
	global_store_dwordx4 v53, v[0:3], s[16:17]
	global_store_dwordx4 v53, v[26:29], s[16:17] offset:16
	global_store_dwordx4 v53, v[26:29], s[16:17] offset:32
	;; [unrolled: 1-line block ×3, first 2 shown]
	s_and_saveexec_b64 s[16:17], s[0:1]
	s_cbranch_execz .LBB5_218
; %bb.211:                              ;   in Loop: Header=BB5_3 Depth=1
	global_load_dwordx2 v[28:29], v3, s[2:3] offset:32 glc
	global_load_dwordx2 v[0:1], v3, s[2:3] offset:40
	v_mov_b32_e32 v26, s14
	v_mov_b32_e32 v27, s15
	s_waitcnt vmcnt(0)
	v_readfirstlane_b32 s18, v0
	v_readfirstlane_b32 s19, v1
	s_and_b64 s[18:19], s[18:19], s[14:15]
	s_mul_i32 s19, s19, 24
	s_mul_hi_u32 s20, s18, 24
	s_mul_i32 s18, s18, 24
	s_add_i32 s19, s20, s19
	v_mov_b32_e32 v1, s19
	v_add_co_u32_e32 v0, vcc, s18, v20
	v_addc_co_u32_e32 v1, vcc, v21, v1, vcc
	global_store_dwordx2 v[0:1], v[28:29], off
	s_waitcnt vmcnt(0)
	global_atomic_cmpswap_x2 v[22:23], v3, v[26:29], s[2:3] offset:32 glc
	s_waitcnt vmcnt(0)
	v_cmp_ne_u64_e32 vcc, v[22:23], v[28:29]
	s_and_saveexec_b64 s[18:19], vcc
	s_cbranch_execz .LBB5_214
; %bb.212:                              ;   in Loop: Header=BB5_3 Depth=1
	s_mov_b64 s[20:21], 0
.LBB5_213:                              ;   Parent Loop BB5_3 Depth=1
                                        ; =>  This Inner Loop Header: Depth=2
	s_sleep 1
	global_store_dwordx2 v[0:1], v[22:23], off
	v_mov_b32_e32 v20, s14
	v_mov_b32_e32 v21, s15
	s_waitcnt vmcnt(0)
	global_atomic_cmpswap_x2 v[4:5], v3, v[20:23], s[2:3] offset:32 glc
	s_waitcnt vmcnt(0)
	v_cmp_eq_u64_e32 vcc, v[4:5], v[22:23]
	v_mov_b32_e32 v23, v5
	s_or_b64 s[20:21], vcc, s[20:21]
	v_mov_b32_e32 v22, v4
	s_andn2_b64 exec, exec, s[20:21]
	s_cbranch_execnz .LBB5_213
.LBB5_214:                              ;   in Loop: Header=BB5_3 Depth=1
	s_or_b64 exec, exec, s[18:19]
	global_load_dwordx2 v[0:1], v3, s[2:3] offset:16
	s_mov_b64 s[20:21], exec
	v_mbcnt_lo_u32_b32 v2, s20, 0
	v_mbcnt_hi_u32_b32 v2, s21, v2
	v_cmp_eq_u32_e32 vcc, 0, v2
	s_and_saveexec_b64 s[18:19], vcc
	s_cbranch_execz .LBB5_216
; %bb.215:                              ;   in Loop: Header=BB5_3 Depth=1
	s_bcnt1_i32_b64 s20, s[20:21]
	v_mov_b32_e32 v2, s20
	s_waitcnt vmcnt(0)
	global_atomic_add_x2 v[0:1], v[2:3], off offset:8
.LBB5_216:                              ;   in Loop: Header=BB5_3 Depth=1
	s_or_b64 exec, exec, s[18:19]
	s_waitcnt vmcnt(0)
	global_load_dwordx2 v[4:5], v[0:1], off offset:16
	s_waitcnt vmcnt(0)
	v_cmp_eq_u64_e32 vcc, 0, v[4:5]
	s_cbranch_vccnz .LBB5_218
; %bb.217:                              ;   in Loop: Header=BB5_3 Depth=1
	global_load_dword v2, v[0:1], off offset:24
	s_waitcnt vmcnt(0)
	v_readfirstlane_b32 s18, v2
	s_and_b32 m0, s18, 0xffffff
	global_store_dwordx2 v[4:5], v[2:3], off
	s_sendmsg sendmsg(MSG_INTERRUPT)
.LBB5_218:                              ;   in Loop: Header=BB5_3 Depth=1
	s_or_b64 exec, exec, s[16:17]
	v_add_co_u32_e32 v0, vcc, v24, v53
	v_addc_co_u32_e32 v1, vcc, 0, v25, vcc
	s_branch .LBB5_222
.LBB5_219:                              ;   in Loop: Header=BB5_222 Depth=2
	s_or_b64 exec, exec, s[16:17]
	v_readfirstlane_b32 s16, v2
	s_cmp_eq_u32 s16, 0
	s_cbranch_scc1 .LBB5_221
; %bb.220:                              ;   in Loop: Header=BB5_222 Depth=2
	s_sleep 1
	s_cbranch_execnz .LBB5_222
	s_branch .LBB5_224
.LBB5_221:                              ;   in Loop: Header=BB5_3 Depth=1
	s_branch .LBB5_224
.LBB5_222:                              ;   Parent Loop BB5_3 Depth=1
                                        ; =>  This Inner Loop Header: Depth=2
	v_mov_b32_e32 v2, 1
	s_and_saveexec_b64 s[16:17], s[0:1]
	s_cbranch_execz .LBB5_219
; %bb.223:                              ;   in Loop: Header=BB5_222 Depth=2
	global_load_dword v2, v[9:10], off offset:20 glc
	s_waitcnt vmcnt(0)
	buffer_wbinvl1_vol
	v_and_b32_e32 v2, 1, v2
	s_branch .LBB5_219
.LBB5_224:                              ;   in Loop: Header=BB5_3 Depth=1
	global_load_dwordx2 v[20:21], v[0:1], off
	s_and_saveexec_b64 s[16:17], s[0:1]
	s_cbranch_execz .LBB5_228
; %bb.225:                              ;   in Loop: Header=BB5_3 Depth=1
	global_load_dwordx2 v[0:1], v3, s[2:3] offset:40
	global_load_dwordx2 v[26:27], v3, s[2:3] offset:24 glc
	global_load_dwordx2 v[4:5], v3, s[2:3]
	s_waitcnt vmcnt(2)
	v_readfirstlane_b32 s18, v0
	v_readfirstlane_b32 s19, v1
	s_add_u32 s20, s18, 1
	s_addc_u32 s21, s19, 0
	s_add_u32 s0, s20, s14
	s_addc_u32 s1, s21, s15
	s_cmp_eq_u64 s[0:1], 0
	s_cselect_b32 s1, s21, s1
	s_cselect_b32 s0, s20, s0
	s_and_b64 s[14:15], s[0:1], s[18:19]
	s_mul_i32 s15, s15, 24
	s_mul_hi_u32 s18, s14, 24
	s_mul_i32 s14, s14, 24
	s_add_i32 s15, s18, s15
	v_mov_b32_e32 v1, s15
	s_waitcnt vmcnt(0)
	v_add_co_u32_e32 v0, vcc, s14, v4
	v_addc_co_u32_e32 v1, vcc, v5, v1, vcc
	v_mov_b32_e32 v24, s0
	global_store_dwordx2 v[0:1], v[26:27], off
	v_mov_b32_e32 v25, s1
	s_waitcnt vmcnt(0)
	global_atomic_cmpswap_x2 v[24:25], v3, v[24:27], s[2:3] offset:24 glc
	s_waitcnt vmcnt(0)
	v_cmp_ne_u64_e32 vcc, v[24:25], v[26:27]
	s_and_b64 exec, exec, vcc
	s_cbranch_execz .LBB5_228
; %bb.226:                              ;   in Loop: Header=BB5_3 Depth=1
	s_mov_b64 s[14:15], 0
.LBB5_227:                              ;   Parent Loop BB5_3 Depth=1
                                        ; =>  This Inner Loop Header: Depth=2
	s_sleep 1
	global_store_dwordx2 v[0:1], v[24:25], off
	v_mov_b32_e32 v22, s0
	v_mov_b32_e32 v23, s1
	s_waitcnt vmcnt(0)
	global_atomic_cmpswap_x2 v[4:5], v3, v[22:25], s[2:3] offset:24 glc
	s_waitcnt vmcnt(0)
	v_cmp_eq_u64_e32 vcc, v[4:5], v[24:25]
	v_mov_b32_e32 v25, v5
	s_or_b64 s[14:15], vcc, s[14:15]
	v_mov_b32_e32 v24, v4
	s_andn2_b64 exec, exec, s[14:15]
	s_cbranch_execnz .LBB5_227
.LBB5_228:                              ;   in Loop: Header=BB5_3 Depth=1
	s_or_b64 exec, exec, s[16:17]
	s_and_b64 vcc, exec, s[12:13]
	s_cbranch_vccnz .LBB5_116
.LBB5_229:                              ;   in Loop: Header=BB5_3 Depth=1
                                        ; implicit-def: $vgpr22_vgpr23
	s_cbranch_execz .LBB5_257
; %bb.230:                              ;   in Loop: Header=BB5_3 Depth=1
	v_readfirstlane_b32 s0, v47
	s_waitcnt vmcnt(0)
	v_mov_b32_e32 v0, 0
	v_mov_b32_e32 v1, 0
	v_cmp_eq_u32_e64 s[0:1], s0, v47
	s_and_saveexec_b64 s[14:15], s[0:1]
	s_cbranch_execz .LBB5_236
; %bb.231:                              ;   in Loop: Header=BB5_3 Depth=1
	global_load_dwordx2 v[24:25], v3, s[2:3] offset:24 glc
	s_waitcnt vmcnt(0)
	buffer_wbinvl1_vol
	global_load_dwordx2 v[0:1], v3, s[2:3] offset:40
	global_load_dwordx2 v[4:5], v3, s[2:3]
	s_waitcnt vmcnt(1)
	v_and_b32_e32 v0, v0, v24
	v_and_b32_e32 v1, v1, v25
	v_mul_lo_u32 v1, v1, 24
	v_mul_hi_u32 v2, v0, 24
	v_mul_lo_u32 v0, v0, 24
	v_add_u32_e32 v1, v2, v1
	s_waitcnt vmcnt(0)
	v_add_co_u32_e32 v0, vcc, v4, v0
	v_addc_co_u32_e32 v1, vcc, v5, v1, vcc
	global_load_dwordx2 v[22:23], v[0:1], off glc
	s_waitcnt vmcnt(0)
	global_atomic_cmpswap_x2 v[0:1], v3, v[22:25], s[2:3] offset:24 glc
	s_waitcnt vmcnt(0)
	buffer_wbinvl1_vol
	v_cmp_ne_u64_e32 vcc, v[0:1], v[24:25]
	s_and_saveexec_b64 s[16:17], vcc
	s_cbranch_execz .LBB5_235
; %bb.232:                              ;   in Loop: Header=BB5_3 Depth=1
	s_mov_b64 s[18:19], 0
.LBB5_233:                              ;   Parent Loop BB5_3 Depth=1
                                        ; =>  This Inner Loop Header: Depth=2
	s_sleep 1
	global_load_dwordx2 v[4:5], v3, s[2:3] offset:40
	global_load_dwordx2 v[9:10], v3, s[2:3]
	v_mov_b32_e32 v25, v1
	v_mov_b32_e32 v24, v0
	s_waitcnt vmcnt(1)
	v_and_b32_e32 v0, v4, v24
	s_waitcnt vmcnt(0)
	v_mad_u64_u32 v[0:1], s[20:21], v0, 24, v[9:10]
	v_and_b32_e32 v2, v5, v25
	v_mad_u64_u32 v[1:2], s[20:21], v2, 24, v[1:2]
	global_load_dwordx2 v[22:23], v[0:1], off glc
	s_waitcnt vmcnt(0)
	global_atomic_cmpswap_x2 v[0:1], v3, v[22:25], s[2:3] offset:24 glc
	s_waitcnt vmcnt(0)
	buffer_wbinvl1_vol
	v_cmp_eq_u64_e32 vcc, v[0:1], v[24:25]
	s_or_b64 s[18:19], vcc, s[18:19]
	s_andn2_b64 exec, exec, s[18:19]
	s_cbranch_execnz .LBB5_233
; %bb.234:                              ;   in Loop: Header=BB5_3 Depth=1
	s_or_b64 exec, exec, s[18:19]
.LBB5_235:                              ;   in Loop: Header=BB5_3 Depth=1
	s_or_b64 exec, exec, s[16:17]
.LBB5_236:                              ;   in Loop: Header=BB5_3 Depth=1
	s_or_b64 exec, exec, s[14:15]
	global_load_dwordx2 v[4:5], v3, s[2:3] offset:40
	global_load_dwordx4 v[24:27], v3, s[2:3]
	v_readfirstlane_b32 s15, v1
	v_readfirstlane_b32 s14, v0
	s_mov_b64 s[16:17], exec
	s_waitcnt vmcnt(1)
	v_readfirstlane_b32 s18, v4
	v_readfirstlane_b32 s19, v5
	s_and_b64 s[18:19], s[18:19], s[14:15]
	s_mul_i32 s20, s19, 24
	s_mul_hi_u32 s21, s18, 24
	s_mul_i32 s22, s18, 24
	s_add_i32 s20, s21, s20
	v_mov_b32_e32 v1, s20
	s_waitcnt vmcnt(0)
	v_add_co_u32_e32 v0, vcc, s22, v24
	v_addc_co_u32_e32 v1, vcc, v25, v1, vcc
	s_and_saveexec_b64 s[20:21], s[0:1]
	s_cbranch_execz .LBB5_238
; %bb.237:                              ;   in Loop: Header=BB5_3 Depth=1
	v_mov_b32_e32 v4, s16
	v_mov_b32_e32 v5, s17
	global_store_dwordx4 v[0:1], v[4:7], off offset:8
.LBB5_238:                              ;   in Loop: Header=BB5_3 Depth=1
	s_or_b64 exec, exec, s[20:21]
	s_lshl_b64 s[16:17], s[18:19], 12
	v_mov_b32_e32 v2, s17
	v_add_co_u32_e32 v26, vcc, s16, v26
	v_addc_co_u32_e32 v27, vcc, v27, v2, vcc
	v_and_or_b32 v20, v20, s29, 32
	v_mov_b32_e32 v22, v3
	v_mov_b32_e32 v23, v3
	v_readfirstlane_b32 s16, v26
	v_readfirstlane_b32 s17, v27
	s_nop 4
	global_store_dwordx4 v53, v[20:23], s[16:17]
	s_nop 0
	v_mov_b32_e32 v23, s11
	v_mov_b32_e32 v22, s10
	;; [unrolled: 1-line block ×4, first 2 shown]
	global_store_dwordx4 v53, v[20:23], s[16:17] offset:16
	global_store_dwordx4 v53, v[20:23], s[16:17] offset:32
	;; [unrolled: 1-line block ×3, first 2 shown]
	s_and_saveexec_b64 s[16:17], s[0:1]
	s_cbranch_execz .LBB5_246
; %bb.239:                              ;   in Loop: Header=BB5_3 Depth=1
	global_load_dwordx2 v[30:31], v3, s[2:3] offset:32 glc
	global_load_dwordx2 v[4:5], v3, s[2:3] offset:40
	v_mov_b32_e32 v28, s14
	v_mov_b32_e32 v29, s15
	s_waitcnt vmcnt(0)
	v_readfirstlane_b32 s18, v4
	v_readfirstlane_b32 s19, v5
	s_and_b64 s[18:19], s[18:19], s[14:15]
	s_mul_i32 s19, s19, 24
	s_mul_hi_u32 s20, s18, 24
	s_mul_i32 s18, s18, 24
	s_add_i32 s19, s20, s19
	v_mov_b32_e32 v2, s19
	v_add_co_u32_e32 v4, vcc, s18, v24
	v_addc_co_u32_e32 v5, vcc, v25, v2, vcc
	global_store_dwordx2 v[4:5], v[30:31], off
	s_waitcnt vmcnt(0)
	global_atomic_cmpswap_x2 v[22:23], v3, v[28:31], s[2:3] offset:32 glc
	s_waitcnt vmcnt(0)
	v_cmp_ne_u64_e32 vcc, v[22:23], v[30:31]
	s_and_saveexec_b64 s[18:19], vcc
	s_cbranch_execz .LBB5_242
; %bb.240:                              ;   in Loop: Header=BB5_3 Depth=1
	s_mov_b64 s[20:21], 0
.LBB5_241:                              ;   Parent Loop BB5_3 Depth=1
                                        ; =>  This Inner Loop Header: Depth=2
	s_sleep 1
	global_store_dwordx2 v[4:5], v[22:23], off
	v_mov_b32_e32 v20, s14
	v_mov_b32_e32 v21, s15
	s_waitcnt vmcnt(0)
	global_atomic_cmpswap_x2 v[9:10], v3, v[20:23], s[2:3] offset:32 glc
	s_waitcnt vmcnt(0)
	v_cmp_eq_u64_e32 vcc, v[9:10], v[22:23]
	v_mov_b32_e32 v23, v10
	s_or_b64 s[20:21], vcc, s[20:21]
	v_mov_b32_e32 v22, v9
	s_andn2_b64 exec, exec, s[20:21]
	s_cbranch_execnz .LBB5_241
.LBB5_242:                              ;   in Loop: Header=BB5_3 Depth=1
	s_or_b64 exec, exec, s[18:19]
	global_load_dwordx2 v[4:5], v3, s[2:3] offset:16
	s_mov_b64 s[20:21], exec
	v_mbcnt_lo_u32_b32 v2, s20, 0
	v_mbcnt_hi_u32_b32 v2, s21, v2
	v_cmp_eq_u32_e32 vcc, 0, v2
	s_and_saveexec_b64 s[18:19], vcc
	s_cbranch_execz .LBB5_244
; %bb.243:                              ;   in Loop: Header=BB5_3 Depth=1
	s_bcnt1_i32_b64 s20, s[20:21]
	v_mov_b32_e32 v2, s20
	s_waitcnt vmcnt(0)
	global_atomic_add_x2 v[4:5], v[2:3], off offset:8
.LBB5_244:                              ;   in Loop: Header=BB5_3 Depth=1
	s_or_b64 exec, exec, s[18:19]
	s_waitcnt vmcnt(0)
	global_load_dwordx2 v[9:10], v[4:5], off offset:16
	s_waitcnt vmcnt(0)
	v_cmp_eq_u64_e32 vcc, 0, v[9:10]
	s_cbranch_vccnz .LBB5_246
; %bb.245:                              ;   in Loop: Header=BB5_3 Depth=1
	global_load_dword v2, v[4:5], off offset:24
	s_waitcnt vmcnt(0)
	v_readfirstlane_b32 s18, v2
	s_and_b32 m0, s18, 0xffffff
	global_store_dwordx2 v[9:10], v[2:3], off
	s_sendmsg sendmsg(MSG_INTERRUPT)
.LBB5_246:                              ;   in Loop: Header=BB5_3 Depth=1
	s_or_b64 exec, exec, s[16:17]
	v_add_co_u32_e32 v4, vcc, v26, v53
	v_addc_co_u32_e32 v5, vcc, 0, v27, vcc
	s_branch .LBB5_250
.LBB5_247:                              ;   in Loop: Header=BB5_250 Depth=2
	s_or_b64 exec, exec, s[16:17]
	v_readfirstlane_b32 s16, v2
	s_cmp_eq_u32 s16, 0
	s_cbranch_scc1 .LBB5_249
; %bb.248:                              ;   in Loop: Header=BB5_250 Depth=2
	s_sleep 1
	s_cbranch_execnz .LBB5_250
	s_branch .LBB5_252
.LBB5_249:                              ;   in Loop: Header=BB5_3 Depth=1
	s_branch .LBB5_252
.LBB5_250:                              ;   Parent Loop BB5_3 Depth=1
                                        ; =>  This Inner Loop Header: Depth=2
	v_mov_b32_e32 v2, 1
	s_and_saveexec_b64 s[16:17], s[0:1]
	s_cbranch_execz .LBB5_247
; %bb.251:                              ;   in Loop: Header=BB5_250 Depth=2
	global_load_dword v2, v[0:1], off offset:20 glc
	s_waitcnt vmcnt(0)
	buffer_wbinvl1_vol
	v_and_b32_e32 v2, 1, v2
	s_branch .LBB5_247
.LBB5_252:                              ;   in Loop: Header=BB5_3 Depth=1
	global_load_dwordx2 v[22:23], v[4:5], off
	s_and_saveexec_b64 s[16:17], s[0:1]
	s_cbranch_execz .LBB5_256
; %bb.253:                              ;   in Loop: Header=BB5_3 Depth=1
	global_load_dwordx2 v[0:1], v3, s[2:3] offset:40
	global_load_dwordx2 v[28:29], v3, s[2:3] offset:24 glc
	global_load_dwordx2 v[4:5], v3, s[2:3]
	s_waitcnt vmcnt(2)
	v_readfirstlane_b32 s18, v0
	v_readfirstlane_b32 s19, v1
	s_add_u32 s20, s18, 1
	s_addc_u32 s21, s19, 0
	s_add_u32 s0, s20, s14
	s_addc_u32 s1, s21, s15
	s_cmp_eq_u64 s[0:1], 0
	s_cselect_b32 s1, s21, s1
	s_cselect_b32 s0, s20, s0
	s_and_b64 s[14:15], s[0:1], s[18:19]
	s_mul_i32 s15, s15, 24
	s_mul_hi_u32 s18, s14, 24
	s_mul_i32 s14, s14, 24
	s_add_i32 s15, s18, s15
	v_mov_b32_e32 v1, s15
	s_waitcnt vmcnt(0)
	v_add_co_u32_e32 v0, vcc, s14, v4
	v_addc_co_u32_e32 v1, vcc, v5, v1, vcc
	v_mov_b32_e32 v26, s0
	global_store_dwordx2 v[0:1], v[28:29], off
	v_mov_b32_e32 v27, s1
	s_waitcnt vmcnt(0)
	global_atomic_cmpswap_x2 v[26:27], v3, v[26:29], s[2:3] offset:24 glc
	s_waitcnt vmcnt(0)
	v_cmp_ne_u64_e32 vcc, v[26:27], v[28:29]
	s_and_b64 exec, exec, vcc
	s_cbranch_execz .LBB5_256
; %bb.254:                              ;   in Loop: Header=BB5_3 Depth=1
	s_mov_b64 s[14:15], 0
.LBB5_255:                              ;   Parent Loop BB5_3 Depth=1
                                        ; =>  This Inner Loop Header: Depth=2
	s_sleep 1
	global_store_dwordx2 v[0:1], v[26:27], off
	v_mov_b32_e32 v24, s0
	v_mov_b32_e32 v25, s1
	s_waitcnt vmcnt(0)
	global_atomic_cmpswap_x2 v[4:5], v3, v[24:27], s[2:3] offset:24 glc
	s_waitcnt vmcnt(0)
	v_cmp_eq_u64_e32 vcc, v[4:5], v[26:27]
	v_mov_b32_e32 v27, v5
	s_or_b64 s[14:15], vcc, s[14:15]
	v_mov_b32_e32 v26, v4
	s_andn2_b64 exec, exec, s[14:15]
	s_cbranch_execnz .LBB5_255
.LBB5_256:                              ;   in Loop: Header=BB5_3 Depth=1
	s_or_b64 exec, exec, s[16:17]
.LBB5_257:                              ;   in Loop: Header=BB5_3 Depth=1
	v_readfirstlane_b32 s0, v47
	s_waitcnt vmcnt(0)
	v_mov_b32_e32 v0, 0
	v_mov_b32_e32 v1, 0
	v_cmp_eq_u32_e64 s[0:1], s0, v47
	s_and_saveexec_b64 s[14:15], s[0:1]
	s_cbranch_execz .LBB5_263
; %bb.258:                              ;   in Loop: Header=BB5_3 Depth=1
	global_load_dwordx2 v[26:27], v3, s[2:3] offset:24 glc
	s_waitcnt vmcnt(0)
	buffer_wbinvl1_vol
	global_load_dwordx2 v[0:1], v3, s[2:3] offset:40
	global_load_dwordx2 v[4:5], v3, s[2:3]
	s_waitcnt vmcnt(1)
	v_and_b32_e32 v0, v0, v26
	v_and_b32_e32 v1, v1, v27
	v_mul_lo_u32 v1, v1, 24
	v_mul_hi_u32 v2, v0, 24
	v_mul_lo_u32 v0, v0, 24
	v_add_u32_e32 v1, v2, v1
	s_waitcnt vmcnt(0)
	v_add_co_u32_e32 v0, vcc, v4, v0
	v_addc_co_u32_e32 v1, vcc, v5, v1, vcc
	global_load_dwordx2 v[24:25], v[0:1], off glc
	s_waitcnt vmcnt(0)
	global_atomic_cmpswap_x2 v[0:1], v3, v[24:27], s[2:3] offset:24 glc
	s_waitcnt vmcnt(0)
	buffer_wbinvl1_vol
	v_cmp_ne_u64_e32 vcc, v[0:1], v[26:27]
	s_and_saveexec_b64 s[16:17], vcc
	s_cbranch_execz .LBB5_262
; %bb.259:                              ;   in Loop: Header=BB5_3 Depth=1
	s_mov_b64 s[18:19], 0
.LBB5_260:                              ;   Parent Loop BB5_3 Depth=1
                                        ; =>  This Inner Loop Header: Depth=2
	s_sleep 1
	global_load_dwordx2 v[4:5], v3, s[2:3] offset:40
	global_load_dwordx2 v[9:10], v3, s[2:3]
	v_mov_b32_e32 v27, v1
	v_mov_b32_e32 v26, v0
	s_waitcnt vmcnt(1)
	v_and_b32_e32 v0, v4, v26
	s_waitcnt vmcnt(0)
	v_mad_u64_u32 v[0:1], s[20:21], v0, 24, v[9:10]
	v_and_b32_e32 v2, v5, v27
	v_mad_u64_u32 v[1:2], s[20:21], v2, 24, v[1:2]
	global_load_dwordx2 v[24:25], v[0:1], off glc
	s_waitcnt vmcnt(0)
	global_atomic_cmpswap_x2 v[0:1], v3, v[24:27], s[2:3] offset:24 glc
	s_waitcnt vmcnt(0)
	buffer_wbinvl1_vol
	v_cmp_eq_u64_e32 vcc, v[0:1], v[26:27]
	s_or_b64 s[18:19], vcc, s[18:19]
	s_andn2_b64 exec, exec, s[18:19]
	s_cbranch_execnz .LBB5_260
; %bb.261:                              ;   in Loop: Header=BB5_3 Depth=1
	s_or_b64 exec, exec, s[18:19]
.LBB5_262:                              ;   in Loop: Header=BB5_3 Depth=1
	s_or_b64 exec, exec, s[16:17]
.LBB5_263:                              ;   in Loop: Header=BB5_3 Depth=1
	s_or_b64 exec, exec, s[14:15]
	global_load_dwordx2 v[4:5], v3, s[2:3] offset:40
	global_load_dwordx4 v[26:29], v3, s[2:3]
	v_readfirstlane_b32 s15, v1
	v_readfirstlane_b32 s14, v0
	s_mov_b64 s[16:17], exec
	s_waitcnt vmcnt(1)
	v_readfirstlane_b32 s18, v4
	v_readfirstlane_b32 s19, v5
	s_and_b64 s[18:19], s[18:19], s[14:15]
	s_mul_i32 s20, s19, 24
	s_mul_hi_u32 s21, s18, 24
	s_mul_i32 s22, s18, 24
	s_add_i32 s20, s21, s20
	v_mov_b32_e32 v1, s20
	s_waitcnt vmcnt(0)
	v_add_co_u32_e32 v0, vcc, s22, v26
	v_addc_co_u32_e32 v1, vcc, v27, v1, vcc
	s_and_saveexec_b64 s[20:21], s[0:1]
	s_cbranch_execz .LBB5_265
; %bb.264:                              ;   in Loop: Header=BB5_3 Depth=1
	v_mov_b32_e32 v4, s16
	v_mov_b32_e32 v5, s17
	global_store_dwordx4 v[0:1], v[4:7], off offset:8
.LBB5_265:                              ;   in Loop: Header=BB5_3 Depth=1
	s_or_b64 exec, exec, s[20:21]
	s_lshl_b64 s[16:17], s[18:19], 12
	v_mov_b32_e32 v2, s17
	v_add_co_u32_e32 v28, vcc, s16, v28
	v_addc_co_u32_e32 v29, vcc, v29, v2, vcc
	v_and_or_b32 v22, v22, s30, 34
	v_mov_b32_e32 v24, v11
	v_mov_b32_e32 v25, v3
	v_readfirstlane_b32 s16, v28
	v_readfirstlane_b32 s17, v29
	s_nop 4
	global_store_dwordx4 v53, v[22:25], s[16:17]
	s_nop 0
	v_mov_b32_e32 v23, s11
	v_mov_b32_e32 v22, s10
	;; [unrolled: 1-line block ×4, first 2 shown]
	global_store_dwordx4 v53, v[20:23], s[16:17] offset:16
	global_store_dwordx4 v53, v[20:23], s[16:17] offset:32
	;; [unrolled: 1-line block ×3, first 2 shown]
	s_and_saveexec_b64 s[16:17], s[0:1]
	s_cbranch_execz .LBB5_273
; %bb.266:                              ;   in Loop: Header=BB5_3 Depth=1
	global_load_dwordx2 v[24:25], v3, s[2:3] offset:32 glc
	global_load_dwordx2 v[4:5], v3, s[2:3] offset:40
	v_mov_b32_e32 v22, s14
	v_mov_b32_e32 v23, s15
	s_waitcnt vmcnt(0)
	v_readfirstlane_b32 s18, v4
	v_readfirstlane_b32 s19, v5
	s_and_b64 s[18:19], s[18:19], s[14:15]
	s_mul_i32 s19, s19, 24
	s_mul_hi_u32 s20, s18, 24
	s_mul_i32 s18, s18, 24
	s_add_i32 s19, s20, s19
	v_mov_b32_e32 v2, s19
	v_add_co_u32_e32 v4, vcc, s18, v26
	v_addc_co_u32_e32 v5, vcc, v27, v2, vcc
	global_store_dwordx2 v[4:5], v[24:25], off
	s_waitcnt vmcnt(0)
	global_atomic_cmpswap_x2 v[22:23], v3, v[22:25], s[2:3] offset:32 glc
	s_waitcnt vmcnt(0)
	v_cmp_ne_u64_e32 vcc, v[22:23], v[24:25]
	s_and_saveexec_b64 s[18:19], vcc
	s_cbranch_execz .LBB5_269
; %bb.267:                              ;   in Loop: Header=BB5_3 Depth=1
	s_mov_b64 s[20:21], 0
.LBB5_268:                              ;   Parent Loop BB5_3 Depth=1
                                        ; =>  This Inner Loop Header: Depth=2
	s_sleep 1
	global_store_dwordx2 v[4:5], v[22:23], off
	v_mov_b32_e32 v20, s14
	v_mov_b32_e32 v21, s15
	s_waitcnt vmcnt(0)
	global_atomic_cmpswap_x2 v[9:10], v3, v[20:23], s[2:3] offset:32 glc
	s_waitcnt vmcnt(0)
	v_cmp_eq_u64_e32 vcc, v[9:10], v[22:23]
	v_mov_b32_e32 v23, v10
	s_or_b64 s[20:21], vcc, s[20:21]
	v_mov_b32_e32 v22, v9
	s_andn2_b64 exec, exec, s[20:21]
	s_cbranch_execnz .LBB5_268
.LBB5_269:                              ;   in Loop: Header=BB5_3 Depth=1
	s_or_b64 exec, exec, s[18:19]
	global_load_dwordx2 v[4:5], v3, s[2:3] offset:16
	s_mov_b64 s[20:21], exec
	v_mbcnt_lo_u32_b32 v2, s20, 0
	v_mbcnt_hi_u32_b32 v2, s21, v2
	v_cmp_eq_u32_e32 vcc, 0, v2
	s_and_saveexec_b64 s[18:19], vcc
	s_cbranch_execz .LBB5_271
; %bb.270:                              ;   in Loop: Header=BB5_3 Depth=1
	s_bcnt1_i32_b64 s20, s[20:21]
	v_mov_b32_e32 v2, s20
	s_waitcnt vmcnt(0)
	global_atomic_add_x2 v[4:5], v[2:3], off offset:8
.LBB5_271:                              ;   in Loop: Header=BB5_3 Depth=1
	s_or_b64 exec, exec, s[18:19]
	s_waitcnt vmcnt(0)
	global_load_dwordx2 v[9:10], v[4:5], off offset:16
	s_waitcnt vmcnt(0)
	v_cmp_eq_u64_e32 vcc, 0, v[9:10]
	s_cbranch_vccnz .LBB5_273
; %bb.272:                              ;   in Loop: Header=BB5_3 Depth=1
	global_load_dword v2, v[4:5], off offset:24
	s_waitcnt vmcnt(0)
	v_readfirstlane_b32 s18, v2
	s_and_b32 m0, s18, 0xffffff
	global_store_dwordx2 v[9:10], v[2:3], off
	s_sendmsg sendmsg(MSG_INTERRUPT)
.LBB5_273:                              ;   in Loop: Header=BB5_3 Depth=1
	s_or_b64 exec, exec, s[16:17]
	v_add_co_u32_e32 v4, vcc, v28, v53
	v_addc_co_u32_e32 v5, vcc, 0, v29, vcc
	s_branch .LBB5_277
.LBB5_274:                              ;   in Loop: Header=BB5_277 Depth=2
	s_or_b64 exec, exec, s[16:17]
	v_readfirstlane_b32 s16, v2
	s_cmp_eq_u32 s16, 0
	s_cbranch_scc1 .LBB5_276
; %bb.275:                              ;   in Loop: Header=BB5_277 Depth=2
	s_sleep 1
	s_cbranch_execnz .LBB5_277
	s_branch .LBB5_279
.LBB5_276:                              ;   in Loop: Header=BB5_3 Depth=1
	s_branch .LBB5_279
.LBB5_277:                              ;   Parent Loop BB5_3 Depth=1
                                        ; =>  This Inner Loop Header: Depth=2
	v_mov_b32_e32 v2, 1
	s_and_saveexec_b64 s[16:17], s[0:1]
	s_cbranch_execz .LBB5_274
; %bb.278:                              ;   in Loop: Header=BB5_277 Depth=2
	global_load_dword v2, v[0:1], off offset:20 glc
	s_waitcnt vmcnt(0)
	buffer_wbinvl1_vol
	v_and_b32_e32 v2, 1, v2
	s_branch .LBB5_274
.LBB5_279:                              ;   in Loop: Header=BB5_3 Depth=1
	global_load_dwordx2 v[43:44], v[4:5], off
	s_and_saveexec_b64 s[16:17], s[0:1]
	s_cbranch_execz .LBB5_283
; %bb.280:                              ;   in Loop: Header=BB5_3 Depth=1
	global_load_dwordx2 v[0:1], v3, s[2:3] offset:40
	global_load_dwordx2 v[24:25], v3, s[2:3] offset:24 glc
	global_load_dwordx2 v[4:5], v3, s[2:3]
	s_waitcnt vmcnt(2)
	v_readfirstlane_b32 s18, v0
	v_readfirstlane_b32 s19, v1
	s_add_u32 s20, s18, 1
	s_addc_u32 s21, s19, 0
	s_add_u32 s0, s20, s14
	s_addc_u32 s1, s21, s15
	s_cmp_eq_u64 s[0:1], 0
	s_cselect_b32 s1, s21, s1
	s_cselect_b32 s0, s20, s0
	s_and_b64 s[14:15], s[0:1], s[18:19]
	s_mul_i32 s15, s15, 24
	s_mul_hi_u32 s18, s14, 24
	s_mul_i32 s14, s14, 24
	s_add_i32 s15, s18, s15
	v_mov_b32_e32 v1, s15
	s_waitcnt vmcnt(0)
	v_add_co_u32_e32 v0, vcc, s14, v4
	v_addc_co_u32_e32 v1, vcc, v5, v1, vcc
	v_mov_b32_e32 v22, s0
	global_store_dwordx2 v[0:1], v[24:25], off
	v_mov_b32_e32 v23, s1
	s_waitcnt vmcnt(0)
	global_atomic_cmpswap_x2 v[22:23], v3, v[22:25], s[2:3] offset:24 glc
	s_waitcnt vmcnt(0)
	v_cmp_ne_u64_e32 vcc, v[22:23], v[24:25]
	s_and_b64 exec, exec, vcc
	s_cbranch_execz .LBB5_283
; %bb.281:                              ;   in Loop: Header=BB5_3 Depth=1
	s_mov_b64 s[14:15], 0
.LBB5_282:                              ;   Parent Loop BB5_3 Depth=1
                                        ; =>  This Inner Loop Header: Depth=2
	s_sleep 1
	global_store_dwordx2 v[0:1], v[22:23], off
	v_mov_b32_e32 v20, s0
	v_mov_b32_e32 v21, s1
	s_waitcnt vmcnt(0)
	global_atomic_cmpswap_x2 v[4:5], v3, v[20:23], s[2:3] offset:24 glc
	s_waitcnt vmcnt(0)
	v_cmp_eq_u64_e32 vcc, v[4:5], v[22:23]
	v_mov_b32_e32 v23, v5
	s_or_b64 s[14:15], vcc, s[14:15]
	v_mov_b32_e32 v22, v4
	s_andn2_b64 exec, exec, s[14:15]
	s_cbranch_execnz .LBB5_282
.LBB5_283:                              ;   in Loop: Header=BB5_3 Depth=1
	s_or_b64 exec, exec, s[16:17]
	ds_read_b32 v2, v49
	v_readfirstlane_b32 s0, v47
	v_mov_b32_e32 v0, 0
	v_mov_b32_e32 v1, 0
	v_cmp_eq_u32_e64 s[0:1], s0, v47
	s_waitcnt vmcnt(0) lgkmcnt(0)
	v_add_u32_e32 v44, v2, v42
	ds_write_b32 v50, v44
	s_and_saveexec_b64 s[14:15], s[0:1]
	s_cbranch_execz .LBB5_289
; %bb.284:                              ;   in Loop: Header=BB5_3 Depth=1
	global_load_dwordx2 v[22:23], v3, s[2:3] offset:24 glc
	s_waitcnt vmcnt(0)
	buffer_wbinvl1_vol
	global_load_dwordx2 v[0:1], v3, s[2:3] offset:40
	global_load_dwordx2 v[4:5], v3, s[2:3]
	s_waitcnt vmcnt(1)
	v_and_b32_e32 v0, v0, v22
	v_and_b32_e32 v1, v1, v23
	v_mul_lo_u32 v1, v1, 24
	v_mul_hi_u32 v2, v0, 24
	v_mul_lo_u32 v0, v0, 24
	v_add_u32_e32 v1, v2, v1
	s_waitcnt vmcnt(0)
	v_add_co_u32_e32 v0, vcc, v4, v0
	v_addc_co_u32_e32 v1, vcc, v5, v1, vcc
	global_load_dwordx2 v[20:21], v[0:1], off glc
	s_waitcnt vmcnt(0)
	global_atomic_cmpswap_x2 v[0:1], v3, v[20:23], s[2:3] offset:24 glc
	s_waitcnt vmcnt(0)
	buffer_wbinvl1_vol
	v_cmp_ne_u64_e32 vcc, v[0:1], v[22:23]
	s_and_saveexec_b64 s[16:17], vcc
	s_cbranch_execz .LBB5_288
; %bb.285:                              ;   in Loop: Header=BB5_3 Depth=1
	s_mov_b64 s[18:19], 0
.LBB5_286:                              ;   Parent Loop BB5_3 Depth=1
                                        ; =>  This Inner Loop Header: Depth=2
	s_sleep 1
	global_load_dwordx2 v[4:5], v3, s[2:3] offset:40
	global_load_dwordx2 v[9:10], v3, s[2:3]
	v_mov_b32_e32 v23, v1
	v_mov_b32_e32 v22, v0
	s_waitcnt vmcnt(1)
	v_and_b32_e32 v0, v4, v22
	s_waitcnt vmcnt(0)
	v_mad_u64_u32 v[0:1], s[20:21], v0, 24, v[9:10]
	v_and_b32_e32 v2, v5, v23
	v_mad_u64_u32 v[1:2], s[20:21], v2, 24, v[1:2]
	global_load_dwordx2 v[20:21], v[0:1], off glc
	s_waitcnt vmcnt(0)
	global_atomic_cmpswap_x2 v[0:1], v3, v[20:23], s[2:3] offset:24 glc
	s_waitcnt vmcnt(0)
	buffer_wbinvl1_vol
	v_cmp_eq_u64_e32 vcc, v[0:1], v[22:23]
	s_or_b64 s[18:19], vcc, s[18:19]
	s_andn2_b64 exec, exec, s[18:19]
	s_cbranch_execnz .LBB5_286
; %bb.287:                              ;   in Loop: Header=BB5_3 Depth=1
	s_or_b64 exec, exec, s[18:19]
.LBB5_288:                              ;   in Loop: Header=BB5_3 Depth=1
	s_or_b64 exec, exec, s[16:17]
.LBB5_289:                              ;   in Loop: Header=BB5_3 Depth=1
	s_or_b64 exec, exec, s[14:15]
	global_load_dwordx2 v[4:5], v3, s[2:3] offset:40
	global_load_dwordx4 v[20:23], v3, s[2:3]
	v_readfirstlane_b32 s15, v1
	v_readfirstlane_b32 s14, v0
	s_mov_b64 s[16:17], exec
	s_waitcnt vmcnt(1)
	v_readfirstlane_b32 s18, v4
	v_readfirstlane_b32 s19, v5
	s_and_b64 s[18:19], s[18:19], s[14:15]
	s_mul_i32 s20, s19, 24
	s_mul_hi_u32 s21, s18, 24
	s_mul_i32 s22, s18, 24
	s_add_i32 s20, s21, s20
	v_mov_b32_e32 v1, s20
	s_waitcnt vmcnt(0)
	v_add_co_u32_e32 v0, vcc, s22, v20
	v_addc_co_u32_e32 v1, vcc, v21, v1, vcc
	s_and_saveexec_b64 s[20:21], s[0:1]
	s_cbranch_execz .LBB5_291
; %bb.290:                              ;   in Loop: Header=BB5_3 Depth=1
	v_mov_b32_e32 v4, s16
	v_mov_b32_e32 v5, s17
	global_store_dwordx4 v[0:1], v[4:7], off offset:8
.LBB5_291:                              ;   in Loop: Header=BB5_3 Depth=1
	s_or_b64 exec, exec, s[20:21]
	s_lshl_b64 s[16:17], s[18:19], 12
	v_mov_b32_e32 v2, s17
	v_add_co_u32_e32 v24, vcc, s16, v22
	v_addc_co_u32_e32 v25, vcc, v23, v2, vcc
	v_mov_b32_e32 v29, s11
	v_mov_b32_e32 v9, v3
	;; [unrolled: 1-line block ×4, first 2 shown]
	v_readfirstlane_b32 s16, v24
	v_readfirstlane_b32 s17, v25
	v_mov_b32_e32 v28, s10
	v_mov_b32_e32 v27, s9
	;; [unrolled: 1-line block ×3, first 2 shown]
	s_nop 1
	global_store_dwordx4 v53, v[8:11], s[16:17]
	global_store_dwordx4 v53, v[26:29], s[16:17] offset:16
	global_store_dwordx4 v53, v[26:29], s[16:17] offset:32
	;; [unrolled: 1-line block ×3, first 2 shown]
	s_and_saveexec_b64 s[16:17], s[0:1]
	s_cbranch_execz .LBB5_299
; %bb.292:                              ;   in Loop: Header=BB5_3 Depth=1
	global_load_dwordx2 v[28:29], v3, s[2:3] offset:32 glc
	global_load_dwordx2 v[4:5], v3, s[2:3] offset:40
	v_mov_b32_e32 v26, s14
	v_mov_b32_e32 v27, s15
	s_waitcnt vmcnt(0)
	v_readfirstlane_b32 s18, v4
	v_readfirstlane_b32 s19, v5
	s_and_b64 s[18:19], s[18:19], s[14:15]
	s_mul_i32 s19, s19, 24
	s_mul_hi_u32 s20, s18, 24
	s_mul_i32 s18, s18, 24
	s_add_i32 s19, s20, s19
	v_mov_b32_e32 v2, s19
	v_add_co_u32_e32 v4, vcc, s18, v20
	v_addc_co_u32_e32 v5, vcc, v21, v2, vcc
	global_store_dwordx2 v[4:5], v[28:29], off
	s_waitcnt vmcnt(0)
	global_atomic_cmpswap_x2 v[22:23], v3, v[26:29], s[2:3] offset:32 glc
	s_waitcnt vmcnt(0)
	v_cmp_ne_u64_e32 vcc, v[22:23], v[28:29]
	s_and_saveexec_b64 s[18:19], vcc
	s_cbranch_execz .LBB5_295
; %bb.293:                              ;   in Loop: Header=BB5_3 Depth=1
	s_mov_b64 s[20:21], 0
.LBB5_294:                              ;   Parent Loop BB5_3 Depth=1
                                        ; =>  This Inner Loop Header: Depth=2
	s_sleep 1
	global_store_dwordx2 v[4:5], v[22:23], off
	v_mov_b32_e32 v20, s14
	v_mov_b32_e32 v21, s15
	s_waitcnt vmcnt(0)
	global_atomic_cmpswap_x2 v[9:10], v3, v[20:23], s[2:3] offset:32 glc
	s_waitcnt vmcnt(0)
	v_cmp_eq_u64_e32 vcc, v[9:10], v[22:23]
	v_mov_b32_e32 v23, v10
	s_or_b64 s[20:21], vcc, s[20:21]
	v_mov_b32_e32 v22, v9
	s_andn2_b64 exec, exec, s[20:21]
	s_cbranch_execnz .LBB5_294
.LBB5_295:                              ;   in Loop: Header=BB5_3 Depth=1
	s_or_b64 exec, exec, s[18:19]
	global_load_dwordx2 v[4:5], v3, s[2:3] offset:16
	s_mov_b64 s[20:21], exec
	v_mbcnt_lo_u32_b32 v2, s20, 0
	v_mbcnt_hi_u32_b32 v2, s21, v2
	v_cmp_eq_u32_e32 vcc, 0, v2
	s_and_saveexec_b64 s[18:19], vcc
	s_cbranch_execz .LBB5_297
; %bb.296:                              ;   in Loop: Header=BB5_3 Depth=1
	s_bcnt1_i32_b64 s20, s[20:21]
	v_mov_b32_e32 v2, s20
	s_waitcnt vmcnt(0)
	global_atomic_add_x2 v[4:5], v[2:3], off offset:8
.LBB5_297:                              ;   in Loop: Header=BB5_3 Depth=1
	s_or_b64 exec, exec, s[18:19]
	s_waitcnt vmcnt(0)
	global_load_dwordx2 v[9:10], v[4:5], off offset:16
	s_waitcnt vmcnt(0)
	v_cmp_eq_u64_e32 vcc, 0, v[9:10]
	s_cbranch_vccnz .LBB5_299
; %bb.298:                              ;   in Loop: Header=BB5_3 Depth=1
	global_load_dword v2, v[4:5], off offset:24
	s_waitcnt vmcnt(0)
	v_readfirstlane_b32 s18, v2
	s_and_b32 m0, s18, 0xffffff
	global_store_dwordx2 v[9:10], v[2:3], off
	s_sendmsg sendmsg(MSG_INTERRUPT)
.LBB5_299:                              ;   in Loop: Header=BB5_3 Depth=1
	s_or_b64 exec, exec, s[16:17]
	v_add_co_u32_e32 v4, vcc, v24, v53
	v_addc_co_u32_e32 v5, vcc, 0, v25, vcc
	s_branch .LBB5_303
.LBB5_300:                              ;   in Loop: Header=BB5_303 Depth=2
	s_or_b64 exec, exec, s[16:17]
	v_readfirstlane_b32 s16, v2
	s_cmp_eq_u32 s16, 0
	s_cbranch_scc1 .LBB5_302
; %bb.301:                              ;   in Loop: Header=BB5_303 Depth=2
	s_sleep 1
	s_cbranch_execnz .LBB5_303
	s_branch .LBB5_305
.LBB5_302:                              ;   in Loop: Header=BB5_3 Depth=1
	s_branch .LBB5_305
.LBB5_303:                              ;   Parent Loop BB5_3 Depth=1
                                        ; =>  This Inner Loop Header: Depth=2
	v_mov_b32_e32 v2, 1
	s_and_saveexec_b64 s[16:17], s[0:1]
	s_cbranch_execz .LBB5_300
; %bb.304:                              ;   in Loop: Header=BB5_303 Depth=2
	global_load_dword v2, v[0:1], off offset:20 glc
	s_waitcnt vmcnt(0)
	buffer_wbinvl1_vol
	v_and_b32_e32 v2, 1, v2
	s_branch .LBB5_300
.LBB5_305:                              ;   in Loop: Header=BB5_3 Depth=1
	global_load_dwordx2 v[0:1], v[4:5], off
	s_and_saveexec_b64 s[16:17], s[0:1]
	s_cbranch_execz .LBB5_309
; %bb.306:                              ;   in Loop: Header=BB5_3 Depth=1
	global_load_dwordx2 v[4:5], v3, s[2:3] offset:40
	global_load_dwordx2 v[24:25], v3, s[2:3] offset:24 glc
	global_load_dwordx2 v[9:10], v3, s[2:3]
	s_waitcnt vmcnt(2)
	v_readfirstlane_b32 s18, v4
	v_readfirstlane_b32 s19, v5
	s_add_u32 s20, s18, 1
	s_addc_u32 s21, s19, 0
	s_add_u32 s0, s20, s14
	s_addc_u32 s1, s21, s15
	s_cmp_eq_u64 s[0:1], 0
	s_cselect_b32 s1, s21, s1
	s_cselect_b32 s0, s20, s0
	s_and_b64 s[14:15], s[0:1], s[18:19]
	s_mul_i32 s15, s15, 24
	s_mul_hi_u32 s18, s14, 24
	s_mul_i32 s14, s14, 24
	s_add_i32 s15, s18, s15
	v_mov_b32_e32 v2, s15
	s_waitcnt vmcnt(0)
	v_add_co_u32_e32 v4, vcc, s14, v9
	v_addc_co_u32_e32 v5, vcc, v10, v2, vcc
	v_mov_b32_e32 v22, s0
	global_store_dwordx2 v[4:5], v[24:25], off
	v_mov_b32_e32 v23, s1
	s_waitcnt vmcnt(0)
	global_atomic_cmpswap_x2 v[22:23], v3, v[22:25], s[2:3] offset:24 glc
	s_waitcnt vmcnt(0)
	v_cmp_ne_u64_e32 vcc, v[22:23], v[24:25]
	s_and_b64 exec, exec, vcc
	s_cbranch_execz .LBB5_309
; %bb.307:                              ;   in Loop: Header=BB5_3 Depth=1
	s_mov_b64 s[14:15], 0
.LBB5_308:                              ;   Parent Loop BB5_3 Depth=1
                                        ; =>  This Inner Loop Header: Depth=2
	s_sleep 1
	global_store_dwordx2 v[4:5], v[22:23], off
	v_mov_b32_e32 v20, s0
	v_mov_b32_e32 v21, s1
	s_waitcnt vmcnt(0)
	global_atomic_cmpswap_x2 v[9:10], v3, v[20:23], s[2:3] offset:24 glc
	s_waitcnt vmcnt(0)
	v_cmp_eq_u64_e32 vcc, v[9:10], v[22:23]
	v_mov_b32_e32 v23, v10
	s_or_b64 s[14:15], vcc, s[14:15]
	v_mov_b32_e32 v22, v9
	s_andn2_b64 exec, exec, s[14:15]
	s_cbranch_execnz .LBB5_308
.LBB5_309:                              ;   in Loop: Header=BB5_3 Depth=1
	s_or_b64 exec, exec, s[16:17]
	s_and_b64 vcc, exec, s[4:5]
	s_cbranch_vccz .LBB5_481
; %bb.310:                              ;   in Loop: Header=BB5_3 Depth=1
	s_waitcnt vmcnt(0)
	v_and_b32_e32 v11, 2, v0
	v_and_b32_e32 v20, -3, v0
	v_mov_b32_e32 v21, v1
	s_mov_b64 s[16:17], 6
	s_getpc_b64 s[14:15]
	s_add_u32 s14, s14, .str.7@rel32@lo+4
	s_addc_u32 s15, s15, .str.7@rel32@hi+12
	s_branch .LBB5_312
.LBB5_311:                              ;   in Loop: Header=BB5_312 Depth=2
	s_or_b64 exec, exec, s[22:23]
	s_sub_u32 s16, s16, s18
	s_subb_u32 s17, s17, s19
	s_add_u32 s14, s14, s18
	s_addc_u32 s15, s15, s19
	s_cmp_lg_u64 s[16:17], 0
	s_cbranch_scc0 .LBB5_394
.LBB5_312:                              ;   Parent Loop BB5_3 Depth=1
                                        ; =>  This Loop Header: Depth=2
                                        ;       Child Loop BB5_315 Depth 3
                                        ;       Child Loop BB5_323 Depth 3
	;; [unrolled: 1-line block ×11, first 2 shown]
	v_cmp_lt_u64_e64 s[0:1], s[16:17], 56
	v_cmp_gt_u64_e64 s[20:21], s[16:17], 7
	s_and_b64 s[0:1], s[0:1], exec
	s_cselect_b32 s19, s17, 0
	s_cselect_b32 s18, s16, 56
	s_add_u32 s0, s14, 8
	s_addc_u32 s1, s15, 0
	s_and_b64 vcc, exec, s[20:21]
	s_cbranch_vccnz .LBB5_316
; %bb.313:                              ;   in Loop: Header=BB5_312 Depth=2
	s_cmp_eq_u64 s[16:17], 0
	s_cbranch_scc1 .LBB5_317
; %bb.314:                              ;   in Loop: Header=BB5_312 Depth=2
	v_mov_b32_e32 v22, 0
	s_lshl_b64 s[0:1], s[18:19], 3
	s_mov_b64 s[20:21], 0
	v_mov_b32_e32 v23, 0
	s_mov_b64 s[22:23], s[14:15]
.LBB5_315:                              ;   Parent Loop BB5_3 Depth=1
                                        ;     Parent Loop BB5_312 Depth=2
                                        ; =>    This Inner Loop Header: Depth=3
	global_load_ubyte v2, v3, s[22:23]
	s_waitcnt vmcnt(0)
	v_and_b32_e32 v2, 0xffff, v2
	v_lshlrev_b64 v[4:5], s20, v[2:3]
	s_add_u32 s20, s20, 8
	s_addc_u32 s21, s21, 0
	s_add_u32 s22, s22, 1
	s_addc_u32 s23, s23, 0
	v_or_b32_e32 v22, v4, v22
	s_cmp_lg_u32 s0, s20
	v_or_b32_e32 v23, v5, v23
	s_cbranch_scc1 .LBB5_315
	s_branch .LBB5_318
.LBB5_316:                              ;   in Loop: Header=BB5_312 Depth=2
	s_mov_b32 s24, 0
	s_branch .LBB5_319
.LBB5_317:                              ;   in Loop: Header=BB5_312 Depth=2
	v_mov_b32_e32 v22, 0
	v_mov_b32_e32 v23, 0
.LBB5_318:                              ;   in Loop: Header=BB5_312 Depth=2
	s_mov_b64 s[0:1], s[14:15]
	s_mov_b32 s24, 0
	s_cbranch_execnz .LBB5_320
.LBB5_319:                              ;   in Loop: Header=BB5_312 Depth=2
	global_load_dwordx2 v[22:23], v3, s[14:15]
	s_add_i32 s24, s18, -8
.LBB5_320:                              ;   in Loop: Header=BB5_312 Depth=2
	s_add_u32 s20, s0, 8
	s_addc_u32 s21, s1, 0
	s_cmp_gt_u32 s24, 7
	s_cbranch_scc1 .LBB5_324
; %bb.321:                              ;   in Loop: Header=BB5_312 Depth=2
	s_cmp_eq_u32 s24, 0
	s_cbranch_scc1 .LBB5_325
; %bb.322:                              ;   in Loop: Header=BB5_312 Depth=2
	v_mov_b32_e32 v24, 0
	s_mov_b64 s[20:21], 0
	v_mov_b32_e32 v25, 0
	s_mov_b64 s[22:23], 0
.LBB5_323:                              ;   Parent Loop BB5_3 Depth=1
                                        ;     Parent Loop BB5_312 Depth=2
                                        ; =>    This Inner Loop Header: Depth=3
	s_add_u32 s26, s0, s22
	s_addc_u32 s27, s1, s23
	global_load_ubyte v2, v3, s[26:27]
	s_add_u32 s22, s22, 1
	s_addc_u32 s23, s23, 0
	s_waitcnt vmcnt(0)
	v_and_b32_e32 v2, 0xffff, v2
	v_lshlrev_b64 v[4:5], s20, v[2:3]
	s_add_u32 s20, s20, 8
	s_addc_u32 s21, s21, 0
	v_or_b32_e32 v24, v4, v24
	s_cmp_lg_u32 s24, s22
	v_or_b32_e32 v25, v5, v25
	s_cbranch_scc1 .LBB5_323
	s_branch .LBB5_326
.LBB5_324:                              ;   in Loop: Header=BB5_312 Depth=2
                                        ; implicit-def: $vgpr24_vgpr25
	s_mov_b32 s25, 0
	s_branch .LBB5_327
.LBB5_325:                              ;   in Loop: Header=BB5_312 Depth=2
	v_mov_b32_e32 v24, 0
	v_mov_b32_e32 v25, 0
.LBB5_326:                              ;   in Loop: Header=BB5_312 Depth=2
	s_mov_b64 s[20:21], s[0:1]
	s_mov_b32 s25, 0
	s_cbranch_execnz .LBB5_328
.LBB5_327:                              ;   in Loop: Header=BB5_312 Depth=2
	global_load_dwordx2 v[24:25], v3, s[0:1]
	s_add_i32 s25, s24, -8
.LBB5_328:                              ;   in Loop: Header=BB5_312 Depth=2
	s_add_u32 s0, s20, 8
	s_addc_u32 s1, s21, 0
	s_cmp_gt_u32 s25, 7
	s_cbranch_scc1 .LBB5_332
; %bb.329:                              ;   in Loop: Header=BB5_312 Depth=2
	s_cmp_eq_u32 s25, 0
	s_cbranch_scc1 .LBB5_333
; %bb.330:                              ;   in Loop: Header=BB5_312 Depth=2
	v_mov_b32_e32 v26, 0
	s_mov_b64 s[0:1], 0
	v_mov_b32_e32 v27, 0
	s_mov_b64 s[22:23], 0
.LBB5_331:                              ;   Parent Loop BB5_3 Depth=1
                                        ;     Parent Loop BB5_312 Depth=2
                                        ; =>    This Inner Loop Header: Depth=3
	s_add_u32 s26, s20, s22
	s_addc_u32 s27, s21, s23
	global_load_ubyte v2, v3, s[26:27]
	s_add_u32 s22, s22, 1
	s_addc_u32 s23, s23, 0
	s_waitcnt vmcnt(0)
	v_and_b32_e32 v2, 0xffff, v2
	v_lshlrev_b64 v[4:5], s0, v[2:3]
	s_add_u32 s0, s0, 8
	s_addc_u32 s1, s1, 0
	v_or_b32_e32 v26, v4, v26
	s_cmp_lg_u32 s25, s22
	v_or_b32_e32 v27, v5, v27
	s_cbranch_scc1 .LBB5_331
	s_branch .LBB5_334
.LBB5_332:                              ;   in Loop: Header=BB5_312 Depth=2
	s_mov_b32 s24, 0
	s_branch .LBB5_335
.LBB5_333:                              ;   in Loop: Header=BB5_312 Depth=2
	v_mov_b32_e32 v26, 0
	v_mov_b32_e32 v27, 0
.LBB5_334:                              ;   in Loop: Header=BB5_312 Depth=2
	s_mov_b64 s[0:1], s[20:21]
	s_mov_b32 s24, 0
	s_cbranch_execnz .LBB5_336
.LBB5_335:                              ;   in Loop: Header=BB5_312 Depth=2
	global_load_dwordx2 v[26:27], v3, s[20:21]
	s_add_i32 s24, s25, -8
.LBB5_336:                              ;   in Loop: Header=BB5_312 Depth=2
	s_add_u32 s20, s0, 8
	s_addc_u32 s21, s1, 0
	s_cmp_gt_u32 s24, 7
	s_cbranch_scc1 .LBB5_340
; %bb.337:                              ;   in Loop: Header=BB5_312 Depth=2
	s_cmp_eq_u32 s24, 0
	s_cbranch_scc1 .LBB5_341
; %bb.338:                              ;   in Loop: Header=BB5_312 Depth=2
	v_mov_b32_e32 v28, 0
	s_mov_b64 s[20:21], 0
	v_mov_b32_e32 v29, 0
	s_mov_b64 s[22:23], 0
.LBB5_339:                              ;   Parent Loop BB5_3 Depth=1
                                        ;     Parent Loop BB5_312 Depth=2
                                        ; =>    This Inner Loop Header: Depth=3
	s_add_u32 s26, s0, s22
	s_addc_u32 s27, s1, s23
	global_load_ubyte v2, v3, s[26:27]
	s_add_u32 s22, s22, 1
	s_addc_u32 s23, s23, 0
	s_waitcnt vmcnt(0)
	v_and_b32_e32 v2, 0xffff, v2
	v_lshlrev_b64 v[4:5], s20, v[2:3]
	s_add_u32 s20, s20, 8
	s_addc_u32 s21, s21, 0
	v_or_b32_e32 v28, v4, v28
	s_cmp_lg_u32 s24, s22
	v_or_b32_e32 v29, v5, v29
	s_cbranch_scc1 .LBB5_339
	s_branch .LBB5_342
.LBB5_340:                              ;   in Loop: Header=BB5_312 Depth=2
                                        ; implicit-def: $vgpr28_vgpr29
	s_mov_b32 s25, 0
	s_branch .LBB5_343
.LBB5_341:                              ;   in Loop: Header=BB5_312 Depth=2
	v_mov_b32_e32 v28, 0
	v_mov_b32_e32 v29, 0
.LBB5_342:                              ;   in Loop: Header=BB5_312 Depth=2
	s_mov_b64 s[20:21], s[0:1]
	s_mov_b32 s25, 0
	s_cbranch_execnz .LBB5_344
.LBB5_343:                              ;   in Loop: Header=BB5_312 Depth=2
	global_load_dwordx2 v[28:29], v3, s[0:1]
	s_add_i32 s25, s24, -8
.LBB5_344:                              ;   in Loop: Header=BB5_312 Depth=2
	s_add_u32 s0, s20, 8
	s_addc_u32 s1, s21, 0
	s_cmp_gt_u32 s25, 7
	s_cbranch_scc1 .LBB5_348
; %bb.345:                              ;   in Loop: Header=BB5_312 Depth=2
	s_cmp_eq_u32 s25, 0
	s_cbranch_scc1 .LBB5_349
; %bb.346:                              ;   in Loop: Header=BB5_312 Depth=2
	v_mov_b32_e32 v30, 0
	s_mov_b64 s[0:1], 0
	v_mov_b32_e32 v31, 0
	s_mov_b64 s[22:23], 0
.LBB5_347:                              ;   Parent Loop BB5_3 Depth=1
                                        ;     Parent Loop BB5_312 Depth=2
                                        ; =>    This Inner Loop Header: Depth=3
	s_add_u32 s26, s20, s22
	s_addc_u32 s27, s21, s23
	global_load_ubyte v2, v3, s[26:27]
	s_add_u32 s22, s22, 1
	s_addc_u32 s23, s23, 0
	s_waitcnt vmcnt(0)
	v_and_b32_e32 v2, 0xffff, v2
	v_lshlrev_b64 v[4:5], s0, v[2:3]
	s_add_u32 s0, s0, 8
	s_addc_u32 s1, s1, 0
	v_or_b32_e32 v30, v4, v30
	s_cmp_lg_u32 s25, s22
	v_or_b32_e32 v31, v5, v31
	s_cbranch_scc1 .LBB5_347
	s_branch .LBB5_350
.LBB5_348:                              ;   in Loop: Header=BB5_312 Depth=2
	s_mov_b32 s24, 0
	s_branch .LBB5_351
.LBB5_349:                              ;   in Loop: Header=BB5_312 Depth=2
	v_mov_b32_e32 v30, 0
	v_mov_b32_e32 v31, 0
.LBB5_350:                              ;   in Loop: Header=BB5_312 Depth=2
	s_mov_b64 s[0:1], s[20:21]
	s_mov_b32 s24, 0
	s_cbranch_execnz .LBB5_352
.LBB5_351:                              ;   in Loop: Header=BB5_312 Depth=2
	global_load_dwordx2 v[30:31], v3, s[20:21]
	s_add_i32 s24, s25, -8
.LBB5_352:                              ;   in Loop: Header=BB5_312 Depth=2
	s_add_u32 s20, s0, 8
	s_addc_u32 s21, s1, 0
	s_cmp_gt_u32 s24, 7
	s_cbranch_scc1 .LBB5_356
; %bb.353:                              ;   in Loop: Header=BB5_312 Depth=2
	s_cmp_eq_u32 s24, 0
	s_cbranch_scc1 .LBB5_357
; %bb.354:                              ;   in Loop: Header=BB5_312 Depth=2
	v_mov_b32_e32 v32, 0
	s_mov_b64 s[20:21], 0
	v_mov_b32_e32 v33, 0
	s_mov_b64 s[22:23], 0
.LBB5_355:                              ;   Parent Loop BB5_3 Depth=1
                                        ;     Parent Loop BB5_312 Depth=2
                                        ; =>    This Inner Loop Header: Depth=3
	s_add_u32 s26, s0, s22
	s_addc_u32 s27, s1, s23
	global_load_ubyte v2, v3, s[26:27]
	s_add_u32 s22, s22, 1
	s_addc_u32 s23, s23, 0
	s_waitcnt vmcnt(0)
	v_and_b32_e32 v2, 0xffff, v2
	v_lshlrev_b64 v[4:5], s20, v[2:3]
	s_add_u32 s20, s20, 8
	s_addc_u32 s21, s21, 0
	v_or_b32_e32 v32, v4, v32
	s_cmp_lg_u32 s24, s22
	v_or_b32_e32 v33, v5, v33
	s_cbranch_scc1 .LBB5_355
	s_branch .LBB5_358
.LBB5_356:                              ;   in Loop: Header=BB5_312 Depth=2
                                        ; implicit-def: $vgpr32_vgpr33
	s_mov_b32 s25, 0
	s_branch .LBB5_359
.LBB5_357:                              ;   in Loop: Header=BB5_312 Depth=2
	v_mov_b32_e32 v32, 0
	v_mov_b32_e32 v33, 0
.LBB5_358:                              ;   in Loop: Header=BB5_312 Depth=2
	s_mov_b64 s[20:21], s[0:1]
	s_mov_b32 s25, 0
	s_cbranch_execnz .LBB5_360
.LBB5_359:                              ;   in Loop: Header=BB5_312 Depth=2
	global_load_dwordx2 v[32:33], v3, s[0:1]
	s_add_i32 s25, s24, -8
.LBB5_360:                              ;   in Loop: Header=BB5_312 Depth=2
	s_cmp_gt_u32 s25, 7
	s_cbranch_scc1 .LBB5_364
; %bb.361:                              ;   in Loop: Header=BB5_312 Depth=2
	s_cmp_eq_u32 s25, 0
	s_cbranch_scc1 .LBB5_365
; %bb.362:                              ;   in Loop: Header=BB5_312 Depth=2
	v_mov_b32_e32 v34, 0
	s_mov_b64 s[0:1], 0
	v_mov_b32_e32 v35, 0
	s_mov_b64 s[22:23], s[20:21]
.LBB5_363:                              ;   Parent Loop BB5_3 Depth=1
                                        ;     Parent Loop BB5_312 Depth=2
                                        ; =>    This Inner Loop Header: Depth=3
	global_load_ubyte v2, v3, s[22:23]
	s_add_i32 s25, s25, -1
	s_waitcnt vmcnt(0)
	v_and_b32_e32 v2, 0xffff, v2
	v_lshlrev_b64 v[4:5], s0, v[2:3]
	s_add_u32 s0, s0, 8
	s_addc_u32 s1, s1, 0
	s_add_u32 s22, s22, 1
	s_addc_u32 s23, s23, 0
	v_or_b32_e32 v34, v4, v34
	s_cmp_lg_u32 s25, 0
	v_or_b32_e32 v35, v5, v35
	s_cbranch_scc1 .LBB5_363
	s_branch .LBB5_366
.LBB5_364:                              ;   in Loop: Header=BB5_312 Depth=2
	s_branch .LBB5_367
.LBB5_365:                              ;   in Loop: Header=BB5_312 Depth=2
	v_mov_b32_e32 v34, 0
	v_mov_b32_e32 v35, 0
.LBB5_366:                              ;   in Loop: Header=BB5_312 Depth=2
	s_cbranch_execnz .LBB5_368
.LBB5_367:                              ;   in Loop: Header=BB5_312 Depth=2
	global_load_dwordx2 v[34:35], v3, s[20:21]
.LBB5_368:                              ;   in Loop: Header=BB5_312 Depth=2
	v_readfirstlane_b32 s0, v47
	v_mov_b32_e32 v4, 0
	v_mov_b32_e32 v5, 0
	v_cmp_eq_u32_e64 s[0:1], s0, v47
	s_and_saveexec_b64 s[20:21], s[0:1]
	s_cbranch_execz .LBB5_374
; %bb.369:                              ;   in Loop: Header=BB5_312 Depth=2
	global_load_dwordx2 v[38:39], v3, s[2:3] offset:24 glc
	s_waitcnt vmcnt(0)
	buffer_wbinvl1_vol
	global_load_dwordx2 v[4:5], v3, s[2:3] offset:40
	global_load_dwordx2 v[9:10], v3, s[2:3]
	s_waitcnt vmcnt(1)
	v_and_b32_e32 v2, v4, v38
	v_and_b32_e32 v4, v5, v39
	v_mul_lo_u32 v4, v4, 24
	v_mul_hi_u32 v5, v2, 24
	v_mul_lo_u32 v2, v2, 24
	v_add_u32_e32 v5, v5, v4
	s_waitcnt vmcnt(0)
	v_add_co_u32_e32 v4, vcc, v9, v2
	v_addc_co_u32_e32 v5, vcc, v10, v5, vcc
	global_load_dwordx2 v[36:37], v[4:5], off glc
	s_waitcnt vmcnt(0)
	global_atomic_cmpswap_x2 v[4:5], v3, v[36:39], s[2:3] offset:24 glc
	s_waitcnt vmcnt(0)
	buffer_wbinvl1_vol
	v_cmp_ne_u64_e32 vcc, v[4:5], v[38:39]
	s_and_saveexec_b64 s[22:23], vcc
	s_cbranch_execz .LBB5_373
; %bb.370:                              ;   in Loop: Header=BB5_312 Depth=2
	s_mov_b64 s[24:25], 0
.LBB5_371:                              ;   Parent Loop BB5_3 Depth=1
                                        ;     Parent Loop BB5_312 Depth=2
                                        ; =>    This Inner Loop Header: Depth=3
	s_sleep 1
	global_load_dwordx2 v[9:10], v3, s[2:3] offset:40
	global_load_dwordx2 v[36:37], v3, s[2:3]
	v_mov_b32_e32 v39, v5
	v_mov_b32_e32 v38, v4
	s_waitcnt vmcnt(1)
	v_and_b32_e32 v2, v9, v38
	s_waitcnt vmcnt(0)
	v_mad_u64_u32 v[4:5], s[26:27], v2, 24, v[36:37]
	v_and_b32_e32 v9, v10, v39
	v_mov_b32_e32 v2, v5
	v_mad_u64_u32 v[9:10], s[26:27], v9, 24, v[2:3]
	v_mov_b32_e32 v5, v9
	global_load_dwordx2 v[36:37], v[4:5], off glc
	s_waitcnt vmcnt(0)
	global_atomic_cmpswap_x2 v[4:5], v3, v[36:39], s[2:3] offset:24 glc
	s_waitcnt vmcnt(0)
	buffer_wbinvl1_vol
	v_cmp_eq_u64_e32 vcc, v[4:5], v[38:39]
	s_or_b64 s[24:25], vcc, s[24:25]
	s_andn2_b64 exec, exec, s[24:25]
	s_cbranch_execnz .LBB5_371
; %bb.372:                              ;   in Loop: Header=BB5_312 Depth=2
	s_or_b64 exec, exec, s[24:25]
.LBB5_373:                              ;   in Loop: Header=BB5_312 Depth=2
	s_or_b64 exec, exec, s[22:23]
.LBB5_374:                              ;   in Loop: Header=BB5_312 Depth=2
	s_or_b64 exec, exec, s[20:21]
	global_load_dwordx2 v[9:10], v3, s[2:3] offset:40
	global_load_dwordx4 v[36:39], v3, s[2:3]
	v_readfirstlane_b32 s21, v5
	v_readfirstlane_b32 s20, v4
	s_mov_b64 s[22:23], exec
	s_waitcnt vmcnt(1)
	v_readfirstlane_b32 s24, v9
	v_readfirstlane_b32 s25, v10
	s_and_b64 s[24:25], s[24:25], s[20:21]
	s_mul_i32 s26, s25, 24
	s_mul_hi_u32 s27, s24, 24
	s_mul_i32 s33, s24, 24
	s_add_i32 s26, s27, s26
	v_mov_b32_e32 v2, s26
	s_waitcnt vmcnt(0)
	v_add_co_u32_e32 v9, vcc, s33, v36
	v_addc_co_u32_e32 v10, vcc, v37, v2, vcc
	s_and_saveexec_b64 s[26:27], s[0:1]
	s_cbranch_execz .LBB5_376
; %bb.375:                              ;   in Loop: Header=BB5_312 Depth=2
	v_mov_b32_e32 v4, s22
	v_mov_b32_e32 v5, s23
	global_store_dwordx4 v[9:10], v[4:7], off offset:8
.LBB5_376:                              ;   in Loop: Header=BB5_312 Depth=2
	s_or_b64 exec, exec, s[26:27]
	s_lshl_b64 s[22:23], s[24:25], 12
	v_mov_b32_e32 v2, s23
	v_add_co_u32_e32 v38, vcc, s22, v38
	v_addc_co_u32_e32 v39, vcc, v39, v2, vcc
	v_cmp_lt_u64_e64 vcc, s[16:17], 57
	s_lshl_b32 s22, s18, 2
	v_cndmask_b32_e32 v2, 0, v11, vcc
	s_add_i32 s22, s22, 28
	v_and_b32_e32 v4, 0xffffff1f, v20
	s_and_b32 s22, s22, 0x1e0
	v_or_b32_e32 v2, v4, v2
	v_or_b32_e32 v20, s22, v2
	v_readfirstlane_b32 s22, v38
	v_readfirstlane_b32 s23, v39
	s_nop 4
	global_store_dwordx4 v53, v[20:23], s[22:23]
	global_store_dwordx4 v53, v[24:27], s[22:23] offset:16
	global_store_dwordx4 v53, v[28:31], s[22:23] offset:32
	;; [unrolled: 1-line block ×3, first 2 shown]
	s_and_saveexec_b64 s[22:23], s[0:1]
	s_cbranch_execz .LBB5_384
; %bb.377:                              ;   in Loop: Header=BB5_312 Depth=2
	global_load_dwordx2 v[24:25], v3, s[2:3] offset:32 glc
	global_load_dwordx2 v[4:5], v3, s[2:3] offset:40
	v_mov_b32_e32 v22, s20
	v_mov_b32_e32 v23, s21
	s_waitcnt vmcnt(0)
	v_readfirstlane_b32 s24, v4
	v_readfirstlane_b32 s25, v5
	s_and_b64 s[24:25], s[24:25], s[20:21]
	s_mul_i32 s25, s25, 24
	s_mul_hi_u32 s26, s24, 24
	s_mul_i32 s24, s24, 24
	s_add_i32 s25, s26, s25
	v_mov_b32_e32 v2, s25
	v_add_co_u32_e32 v4, vcc, s24, v36
	v_addc_co_u32_e32 v5, vcc, v37, v2, vcc
	global_store_dwordx2 v[4:5], v[24:25], off
	s_waitcnt vmcnt(0)
	global_atomic_cmpswap_x2 v[22:23], v3, v[22:25], s[2:3] offset:32 glc
	s_waitcnt vmcnt(0)
	v_cmp_ne_u64_e32 vcc, v[22:23], v[24:25]
	s_and_saveexec_b64 s[24:25], vcc
	s_cbranch_execz .LBB5_380
; %bb.378:                              ;   in Loop: Header=BB5_312 Depth=2
	s_mov_b64 s[26:27], 0
.LBB5_379:                              ;   Parent Loop BB5_3 Depth=1
                                        ;     Parent Loop BB5_312 Depth=2
                                        ; =>    This Inner Loop Header: Depth=3
	s_sleep 1
	global_store_dwordx2 v[4:5], v[22:23], off
	v_mov_b32_e32 v20, s20
	v_mov_b32_e32 v21, s21
	s_waitcnt vmcnt(0)
	global_atomic_cmpswap_x2 v[20:21], v3, v[20:23], s[2:3] offset:32 glc
	s_waitcnt vmcnt(0)
	v_cmp_eq_u64_e32 vcc, v[20:21], v[22:23]
	v_mov_b32_e32 v23, v21
	s_or_b64 s[26:27], vcc, s[26:27]
	v_mov_b32_e32 v22, v20
	s_andn2_b64 exec, exec, s[26:27]
	s_cbranch_execnz .LBB5_379
.LBB5_380:                              ;   in Loop: Header=BB5_312 Depth=2
	s_or_b64 exec, exec, s[24:25]
	global_load_dwordx2 v[4:5], v3, s[2:3] offset:16
	s_mov_b64 s[26:27], exec
	v_mbcnt_lo_u32_b32 v2, s26, 0
	v_mbcnt_hi_u32_b32 v2, s27, v2
	v_cmp_eq_u32_e32 vcc, 0, v2
	s_and_saveexec_b64 s[24:25], vcc
	s_cbranch_execz .LBB5_382
; %bb.381:                              ;   in Loop: Header=BB5_312 Depth=2
	s_bcnt1_i32_b64 s26, s[26:27]
	v_mov_b32_e32 v2, s26
	s_waitcnt vmcnt(0)
	global_atomic_add_x2 v[4:5], v[2:3], off offset:8
.LBB5_382:                              ;   in Loop: Header=BB5_312 Depth=2
	s_or_b64 exec, exec, s[24:25]
	s_waitcnt vmcnt(0)
	global_load_dwordx2 v[20:21], v[4:5], off offset:16
	s_waitcnt vmcnt(0)
	v_cmp_eq_u64_e32 vcc, 0, v[20:21]
	s_cbranch_vccnz .LBB5_384
; %bb.383:                              ;   in Loop: Header=BB5_312 Depth=2
	global_load_dword v2, v[4:5], off offset:24
	s_waitcnt vmcnt(0)
	v_readfirstlane_b32 s24, v2
	s_and_b32 m0, s24, 0xffffff
	global_store_dwordx2 v[20:21], v[2:3], off
	s_sendmsg sendmsg(MSG_INTERRUPT)
.LBB5_384:                              ;   in Loop: Header=BB5_312 Depth=2
	s_or_b64 exec, exec, s[22:23]
	v_add_co_u32_e32 v4, vcc, v38, v53
	v_addc_co_u32_e32 v5, vcc, 0, v39, vcc
	s_branch .LBB5_388
.LBB5_385:                              ;   in Loop: Header=BB5_388 Depth=3
	s_or_b64 exec, exec, s[22:23]
	v_readfirstlane_b32 s22, v2
	s_cmp_eq_u32 s22, 0
	s_cbranch_scc1 .LBB5_387
; %bb.386:                              ;   in Loop: Header=BB5_388 Depth=3
	s_sleep 1
	s_cbranch_execnz .LBB5_388
	s_branch .LBB5_390
.LBB5_387:                              ;   in Loop: Header=BB5_312 Depth=2
	s_branch .LBB5_390
.LBB5_388:                              ;   Parent Loop BB5_3 Depth=1
                                        ;     Parent Loop BB5_312 Depth=2
                                        ; =>    This Inner Loop Header: Depth=3
	v_mov_b32_e32 v2, 1
	s_and_saveexec_b64 s[22:23], s[0:1]
	s_cbranch_execz .LBB5_385
; %bb.389:                              ;   in Loop: Header=BB5_388 Depth=3
	global_load_dword v2, v[9:10], off offset:20 glc
	s_waitcnt vmcnt(0)
	buffer_wbinvl1_vol
	v_and_b32_e32 v2, 1, v2
	s_branch .LBB5_385
.LBB5_390:                              ;   in Loop: Header=BB5_312 Depth=2
	global_load_dwordx2 v[20:21], v[4:5], off
	s_and_saveexec_b64 s[22:23], s[0:1]
	s_cbranch_execz .LBB5_311
; %bb.391:                              ;   in Loop: Header=BB5_312 Depth=2
	global_load_dwordx2 v[4:5], v3, s[2:3] offset:40
	global_load_dwordx2 v[26:27], v3, s[2:3] offset:24 glc
	global_load_dwordx2 v[9:10], v3, s[2:3]
	s_waitcnt vmcnt(2)
	v_readfirstlane_b32 s24, v4
	v_readfirstlane_b32 s25, v5
	s_add_u32 s26, s24, 1
	s_addc_u32 s27, s25, 0
	s_add_u32 s0, s26, s20
	s_addc_u32 s1, s27, s21
	s_cmp_eq_u64 s[0:1], 0
	s_cselect_b32 s1, s27, s1
	s_cselect_b32 s0, s26, s0
	s_and_b64 s[20:21], s[0:1], s[24:25]
	s_mul_i32 s21, s21, 24
	s_mul_hi_u32 s24, s20, 24
	s_mul_i32 s20, s20, 24
	s_add_i32 s21, s24, s21
	v_mov_b32_e32 v2, s21
	s_waitcnt vmcnt(0)
	v_add_co_u32_e32 v4, vcc, s20, v9
	v_addc_co_u32_e32 v5, vcc, v10, v2, vcc
	v_mov_b32_e32 v24, s0
	global_store_dwordx2 v[4:5], v[26:27], off
	v_mov_b32_e32 v25, s1
	s_waitcnt vmcnt(0)
	global_atomic_cmpswap_x2 v[24:25], v3, v[24:27], s[2:3] offset:24 glc
	s_waitcnt vmcnt(0)
	v_cmp_ne_u64_e32 vcc, v[24:25], v[26:27]
	s_and_b64 exec, exec, vcc
	s_cbranch_execz .LBB5_311
; %bb.392:                              ;   in Loop: Header=BB5_312 Depth=2
	s_mov_b64 s[20:21], 0
.LBB5_393:                              ;   Parent Loop BB5_3 Depth=1
                                        ;     Parent Loop BB5_312 Depth=2
                                        ; =>    This Inner Loop Header: Depth=3
	s_sleep 1
	global_store_dwordx2 v[4:5], v[24:25], off
	v_mov_b32_e32 v22, s0
	v_mov_b32_e32 v23, s1
	s_waitcnt vmcnt(0)
	global_atomic_cmpswap_x2 v[9:10], v3, v[22:25], s[2:3] offset:24 glc
	s_waitcnt vmcnt(0)
	v_cmp_eq_u64_e32 vcc, v[9:10], v[24:25]
	v_mov_b32_e32 v25, v10
	s_or_b64 s[20:21], vcc, s[20:21]
	v_mov_b32_e32 v24, v9
	s_andn2_b64 exec, exec, s[20:21]
	s_cbranch_execnz .LBB5_393
	s_branch .LBB5_311
.LBB5_394:                              ;   in Loop: Header=BB5_3 Depth=1
.LBB5_395:                              ;   in Loop: Header=BB5_3 Depth=1
	s_and_b64 vcc, exec, s[12:13]
	s_cbranch_vccz .LBB5_509
.LBB5_396:                              ;   in Loop: Header=BB5_3 Depth=1
	s_waitcnt vmcnt(0)
	v_and_b32_e32 v11, 2, v20
	v_and_b32_e32 v22, -3, v20
	v_mov_b32_e32 v23, v21
	s_mov_b64 s[16:17], 45
	s_getpc_b64 s[14:15]
	s_add_u32 s14, s14, .str.6@rel32@lo+4
	s_addc_u32 s15, s15, .str.6@rel32@hi+12
	s_branch .LBB5_398
.LBB5_397:                              ;   in Loop: Header=BB5_398 Depth=2
	s_or_b64 exec, exec, s[22:23]
	s_sub_u32 s16, s16, s18
	s_subb_u32 s17, s17, s19
	s_add_u32 s14, s14, s18
	s_addc_u32 s15, s15, s19
	s_cmp_lg_u64 s[16:17], 0
	s_cbranch_scc0 .LBB5_480
.LBB5_398:                              ;   Parent Loop BB5_3 Depth=1
                                        ; =>  This Loop Header: Depth=2
                                        ;       Child Loop BB5_401 Depth 3
                                        ;       Child Loop BB5_409 Depth 3
	;; [unrolled: 1-line block ×11, first 2 shown]
	v_cmp_lt_u64_e64 s[0:1], s[16:17], 56
	v_cmp_gt_u64_e64 s[20:21], s[16:17], 7
	s_and_b64 s[0:1], s[0:1], exec
	s_cselect_b32 s19, s17, 0
	s_cselect_b32 s18, s16, 56
	s_add_u32 s0, s14, 8
	s_addc_u32 s1, s15, 0
	s_and_b64 vcc, exec, s[20:21]
	s_cbranch_vccnz .LBB5_402
; %bb.399:                              ;   in Loop: Header=BB5_398 Depth=2
	s_cmp_eq_u64 s[16:17], 0
	s_cbranch_scc1 .LBB5_403
; %bb.400:                              ;   in Loop: Header=BB5_398 Depth=2
	v_mov_b32_e32 v24, 0
	s_lshl_b64 s[0:1], s[18:19], 3
	s_mov_b64 s[20:21], 0
	v_mov_b32_e32 v25, 0
	s_mov_b64 s[22:23], s[14:15]
.LBB5_401:                              ;   Parent Loop BB5_3 Depth=1
                                        ;     Parent Loop BB5_398 Depth=2
                                        ; =>    This Inner Loop Header: Depth=3
	global_load_ubyte v0, v3, s[22:23]
	s_waitcnt vmcnt(0)
	v_and_b32_e32 v2, 0xffff, v0
	v_lshlrev_b64 v[0:1], s20, v[2:3]
	s_add_u32 s20, s20, 8
	s_addc_u32 s21, s21, 0
	s_add_u32 s22, s22, 1
	s_addc_u32 s23, s23, 0
	v_or_b32_e32 v24, v0, v24
	s_cmp_lg_u32 s0, s20
	v_or_b32_e32 v25, v1, v25
	s_cbranch_scc1 .LBB5_401
	s_branch .LBB5_404
.LBB5_402:                              ;   in Loop: Header=BB5_398 Depth=2
	s_mov_b32 s24, 0
	s_branch .LBB5_405
.LBB5_403:                              ;   in Loop: Header=BB5_398 Depth=2
	v_mov_b32_e32 v24, 0
	v_mov_b32_e32 v25, 0
.LBB5_404:                              ;   in Loop: Header=BB5_398 Depth=2
	s_mov_b64 s[0:1], s[14:15]
	s_mov_b32 s24, 0
	s_cbranch_execnz .LBB5_406
.LBB5_405:                              ;   in Loop: Header=BB5_398 Depth=2
	global_load_dwordx2 v[24:25], v3, s[14:15]
	s_add_i32 s24, s18, -8
.LBB5_406:                              ;   in Loop: Header=BB5_398 Depth=2
	s_add_u32 s20, s0, 8
	s_addc_u32 s21, s1, 0
	s_cmp_gt_u32 s24, 7
	s_cbranch_scc1 .LBB5_410
; %bb.407:                              ;   in Loop: Header=BB5_398 Depth=2
	s_cmp_eq_u32 s24, 0
	s_cbranch_scc1 .LBB5_411
; %bb.408:                              ;   in Loop: Header=BB5_398 Depth=2
	v_mov_b32_e32 v26, 0
	s_mov_b64 s[20:21], 0
	v_mov_b32_e32 v27, 0
	s_mov_b64 s[22:23], 0
.LBB5_409:                              ;   Parent Loop BB5_3 Depth=1
                                        ;     Parent Loop BB5_398 Depth=2
                                        ; =>    This Inner Loop Header: Depth=3
	s_add_u32 s26, s0, s22
	s_addc_u32 s27, s1, s23
	global_load_ubyte v0, v3, s[26:27]
	s_add_u32 s22, s22, 1
	s_addc_u32 s23, s23, 0
	s_waitcnt vmcnt(0)
	v_and_b32_e32 v2, 0xffff, v0
	v_lshlrev_b64 v[0:1], s20, v[2:3]
	s_add_u32 s20, s20, 8
	s_addc_u32 s21, s21, 0
	v_or_b32_e32 v26, v0, v26
	s_cmp_lg_u32 s24, s22
	v_or_b32_e32 v27, v1, v27
	s_cbranch_scc1 .LBB5_409
	s_branch .LBB5_412
.LBB5_410:                              ;   in Loop: Header=BB5_398 Depth=2
                                        ; implicit-def: $vgpr26_vgpr27
	s_mov_b32 s25, 0
	s_branch .LBB5_413
.LBB5_411:                              ;   in Loop: Header=BB5_398 Depth=2
	v_mov_b32_e32 v26, 0
	v_mov_b32_e32 v27, 0
.LBB5_412:                              ;   in Loop: Header=BB5_398 Depth=2
	s_mov_b64 s[20:21], s[0:1]
	s_mov_b32 s25, 0
	s_cbranch_execnz .LBB5_414
.LBB5_413:                              ;   in Loop: Header=BB5_398 Depth=2
	global_load_dwordx2 v[26:27], v3, s[0:1]
	s_add_i32 s25, s24, -8
.LBB5_414:                              ;   in Loop: Header=BB5_398 Depth=2
	s_add_u32 s0, s20, 8
	s_addc_u32 s1, s21, 0
	s_cmp_gt_u32 s25, 7
	s_cbranch_scc1 .LBB5_418
; %bb.415:                              ;   in Loop: Header=BB5_398 Depth=2
	s_cmp_eq_u32 s25, 0
	s_cbranch_scc1 .LBB5_419
; %bb.416:                              ;   in Loop: Header=BB5_398 Depth=2
	v_mov_b32_e32 v28, 0
	s_mov_b64 s[0:1], 0
	v_mov_b32_e32 v29, 0
	s_mov_b64 s[22:23], 0
.LBB5_417:                              ;   Parent Loop BB5_3 Depth=1
                                        ;     Parent Loop BB5_398 Depth=2
                                        ; =>    This Inner Loop Header: Depth=3
	s_add_u32 s26, s20, s22
	s_addc_u32 s27, s21, s23
	global_load_ubyte v0, v3, s[26:27]
	s_add_u32 s22, s22, 1
	s_addc_u32 s23, s23, 0
	s_waitcnt vmcnt(0)
	v_and_b32_e32 v2, 0xffff, v0
	v_lshlrev_b64 v[0:1], s0, v[2:3]
	s_add_u32 s0, s0, 8
	s_addc_u32 s1, s1, 0
	v_or_b32_e32 v28, v0, v28
	s_cmp_lg_u32 s25, s22
	v_or_b32_e32 v29, v1, v29
	s_cbranch_scc1 .LBB5_417
	s_branch .LBB5_420
.LBB5_418:                              ;   in Loop: Header=BB5_398 Depth=2
	s_mov_b32 s24, 0
	s_branch .LBB5_421
.LBB5_419:                              ;   in Loop: Header=BB5_398 Depth=2
	v_mov_b32_e32 v28, 0
	v_mov_b32_e32 v29, 0
.LBB5_420:                              ;   in Loop: Header=BB5_398 Depth=2
	s_mov_b64 s[0:1], s[20:21]
	s_mov_b32 s24, 0
	s_cbranch_execnz .LBB5_422
.LBB5_421:                              ;   in Loop: Header=BB5_398 Depth=2
	global_load_dwordx2 v[28:29], v3, s[20:21]
	s_add_i32 s24, s25, -8
.LBB5_422:                              ;   in Loop: Header=BB5_398 Depth=2
	s_add_u32 s20, s0, 8
	s_addc_u32 s21, s1, 0
	s_cmp_gt_u32 s24, 7
	s_cbranch_scc1 .LBB5_426
; %bb.423:                              ;   in Loop: Header=BB5_398 Depth=2
	s_cmp_eq_u32 s24, 0
	s_cbranch_scc1 .LBB5_427
; %bb.424:                              ;   in Loop: Header=BB5_398 Depth=2
	v_mov_b32_e32 v30, 0
	s_mov_b64 s[20:21], 0
	v_mov_b32_e32 v31, 0
	s_mov_b64 s[22:23], 0
.LBB5_425:                              ;   Parent Loop BB5_3 Depth=1
                                        ;     Parent Loop BB5_398 Depth=2
                                        ; =>    This Inner Loop Header: Depth=3
	s_add_u32 s26, s0, s22
	s_addc_u32 s27, s1, s23
	global_load_ubyte v0, v3, s[26:27]
	s_add_u32 s22, s22, 1
	s_addc_u32 s23, s23, 0
	s_waitcnt vmcnt(0)
	v_and_b32_e32 v2, 0xffff, v0
	v_lshlrev_b64 v[0:1], s20, v[2:3]
	s_add_u32 s20, s20, 8
	s_addc_u32 s21, s21, 0
	v_or_b32_e32 v30, v0, v30
	s_cmp_lg_u32 s24, s22
	v_or_b32_e32 v31, v1, v31
	s_cbranch_scc1 .LBB5_425
	s_branch .LBB5_428
.LBB5_426:                              ;   in Loop: Header=BB5_398 Depth=2
                                        ; implicit-def: $vgpr30_vgpr31
	s_mov_b32 s25, 0
	s_branch .LBB5_429
.LBB5_427:                              ;   in Loop: Header=BB5_398 Depth=2
	v_mov_b32_e32 v30, 0
	v_mov_b32_e32 v31, 0
.LBB5_428:                              ;   in Loop: Header=BB5_398 Depth=2
	s_mov_b64 s[20:21], s[0:1]
	s_mov_b32 s25, 0
	s_cbranch_execnz .LBB5_430
.LBB5_429:                              ;   in Loop: Header=BB5_398 Depth=2
	global_load_dwordx2 v[30:31], v3, s[0:1]
	s_add_i32 s25, s24, -8
.LBB5_430:                              ;   in Loop: Header=BB5_398 Depth=2
	s_add_u32 s0, s20, 8
	s_addc_u32 s1, s21, 0
	s_cmp_gt_u32 s25, 7
	s_cbranch_scc1 .LBB5_434
; %bb.431:                              ;   in Loop: Header=BB5_398 Depth=2
	s_cmp_eq_u32 s25, 0
	s_cbranch_scc1 .LBB5_435
; %bb.432:                              ;   in Loop: Header=BB5_398 Depth=2
	v_mov_b32_e32 v32, 0
	s_mov_b64 s[0:1], 0
	v_mov_b32_e32 v33, 0
	s_mov_b64 s[22:23], 0
.LBB5_433:                              ;   Parent Loop BB5_3 Depth=1
                                        ;     Parent Loop BB5_398 Depth=2
                                        ; =>    This Inner Loop Header: Depth=3
	s_add_u32 s26, s20, s22
	s_addc_u32 s27, s21, s23
	global_load_ubyte v0, v3, s[26:27]
	s_add_u32 s22, s22, 1
	s_addc_u32 s23, s23, 0
	s_waitcnt vmcnt(0)
	v_and_b32_e32 v2, 0xffff, v0
	v_lshlrev_b64 v[0:1], s0, v[2:3]
	s_add_u32 s0, s0, 8
	s_addc_u32 s1, s1, 0
	v_or_b32_e32 v32, v0, v32
	s_cmp_lg_u32 s25, s22
	v_or_b32_e32 v33, v1, v33
	s_cbranch_scc1 .LBB5_433
	s_branch .LBB5_436
.LBB5_434:                              ;   in Loop: Header=BB5_398 Depth=2
	s_mov_b32 s24, 0
	s_branch .LBB5_437
.LBB5_435:                              ;   in Loop: Header=BB5_398 Depth=2
	v_mov_b32_e32 v32, 0
	v_mov_b32_e32 v33, 0
.LBB5_436:                              ;   in Loop: Header=BB5_398 Depth=2
	s_mov_b64 s[0:1], s[20:21]
	s_mov_b32 s24, 0
	s_cbranch_execnz .LBB5_438
.LBB5_437:                              ;   in Loop: Header=BB5_398 Depth=2
	global_load_dwordx2 v[32:33], v3, s[20:21]
	s_add_i32 s24, s25, -8
.LBB5_438:                              ;   in Loop: Header=BB5_398 Depth=2
	s_add_u32 s20, s0, 8
	s_addc_u32 s21, s1, 0
	s_cmp_gt_u32 s24, 7
	s_cbranch_scc1 .LBB5_442
; %bb.439:                              ;   in Loop: Header=BB5_398 Depth=2
	s_cmp_eq_u32 s24, 0
	s_cbranch_scc1 .LBB5_443
; %bb.440:                              ;   in Loop: Header=BB5_398 Depth=2
	v_mov_b32_e32 v34, 0
	s_mov_b64 s[20:21], 0
	v_mov_b32_e32 v35, 0
	s_mov_b64 s[22:23], 0
.LBB5_441:                              ;   Parent Loop BB5_3 Depth=1
                                        ;     Parent Loop BB5_398 Depth=2
                                        ; =>    This Inner Loop Header: Depth=3
	s_add_u32 s26, s0, s22
	s_addc_u32 s27, s1, s23
	global_load_ubyte v0, v3, s[26:27]
	s_add_u32 s22, s22, 1
	s_addc_u32 s23, s23, 0
	s_waitcnt vmcnt(0)
	v_and_b32_e32 v2, 0xffff, v0
	v_lshlrev_b64 v[0:1], s20, v[2:3]
	s_add_u32 s20, s20, 8
	s_addc_u32 s21, s21, 0
	v_or_b32_e32 v34, v0, v34
	s_cmp_lg_u32 s24, s22
	v_or_b32_e32 v35, v1, v35
	s_cbranch_scc1 .LBB5_441
	s_branch .LBB5_444
.LBB5_442:                              ;   in Loop: Header=BB5_398 Depth=2
                                        ; implicit-def: $vgpr34_vgpr35
	s_mov_b32 s25, 0
	s_branch .LBB5_445
.LBB5_443:                              ;   in Loop: Header=BB5_398 Depth=2
	v_mov_b32_e32 v34, 0
	v_mov_b32_e32 v35, 0
.LBB5_444:                              ;   in Loop: Header=BB5_398 Depth=2
	s_mov_b64 s[20:21], s[0:1]
	s_mov_b32 s25, 0
	s_cbranch_execnz .LBB5_446
.LBB5_445:                              ;   in Loop: Header=BB5_398 Depth=2
	global_load_dwordx2 v[34:35], v3, s[0:1]
	s_add_i32 s25, s24, -8
.LBB5_446:                              ;   in Loop: Header=BB5_398 Depth=2
	s_cmp_gt_u32 s25, 7
	s_cbranch_scc1 .LBB5_450
; %bb.447:                              ;   in Loop: Header=BB5_398 Depth=2
	s_cmp_eq_u32 s25, 0
	s_cbranch_scc1 .LBB5_451
; %bb.448:                              ;   in Loop: Header=BB5_398 Depth=2
	v_mov_b32_e32 v36, 0
	s_mov_b64 s[0:1], 0
	v_mov_b32_e32 v37, 0
	s_mov_b64 s[22:23], s[20:21]
.LBB5_449:                              ;   Parent Loop BB5_3 Depth=1
                                        ;     Parent Loop BB5_398 Depth=2
                                        ; =>    This Inner Loop Header: Depth=3
	global_load_ubyte v0, v3, s[22:23]
	s_add_i32 s25, s25, -1
	s_waitcnt vmcnt(0)
	v_and_b32_e32 v2, 0xffff, v0
	v_lshlrev_b64 v[0:1], s0, v[2:3]
	s_add_u32 s0, s0, 8
	s_addc_u32 s1, s1, 0
	s_add_u32 s22, s22, 1
	s_addc_u32 s23, s23, 0
	v_or_b32_e32 v36, v0, v36
	s_cmp_lg_u32 s25, 0
	v_or_b32_e32 v37, v1, v37
	s_cbranch_scc1 .LBB5_449
	s_branch .LBB5_452
.LBB5_450:                              ;   in Loop: Header=BB5_398 Depth=2
	s_branch .LBB5_453
.LBB5_451:                              ;   in Loop: Header=BB5_398 Depth=2
	v_mov_b32_e32 v36, 0
	v_mov_b32_e32 v37, 0
.LBB5_452:                              ;   in Loop: Header=BB5_398 Depth=2
	s_cbranch_execnz .LBB5_454
.LBB5_453:                              ;   in Loop: Header=BB5_398 Depth=2
	global_load_dwordx2 v[36:37], v3, s[20:21]
.LBB5_454:                              ;   in Loop: Header=BB5_398 Depth=2
	v_readfirstlane_b32 s0, v47
	v_mov_b32_e32 v0, 0
	v_mov_b32_e32 v1, 0
	v_cmp_eq_u32_e64 s[0:1], s0, v47
	s_and_saveexec_b64 s[20:21], s[0:1]
	s_cbranch_execz .LBB5_460
; %bb.455:                              ;   in Loop: Header=BB5_398 Depth=2
	global_load_dwordx2 v[40:41], v3, s[2:3] offset:24 glc
	s_waitcnt vmcnt(0)
	buffer_wbinvl1_vol
	global_load_dwordx2 v[0:1], v3, s[2:3] offset:40
	global_load_dwordx2 v[4:5], v3, s[2:3]
	s_waitcnt vmcnt(1)
	v_and_b32_e32 v0, v0, v40
	v_and_b32_e32 v1, v1, v41
	v_mul_lo_u32 v1, v1, 24
	v_mul_hi_u32 v2, v0, 24
	v_mul_lo_u32 v0, v0, 24
	v_add_u32_e32 v1, v2, v1
	s_waitcnt vmcnt(0)
	v_add_co_u32_e32 v0, vcc, v4, v0
	v_addc_co_u32_e32 v1, vcc, v5, v1, vcc
	global_load_dwordx2 v[38:39], v[0:1], off glc
	s_waitcnt vmcnt(0)
	global_atomic_cmpswap_x2 v[0:1], v3, v[38:41], s[2:3] offset:24 glc
	s_waitcnt vmcnt(0)
	buffer_wbinvl1_vol
	v_cmp_ne_u64_e32 vcc, v[0:1], v[40:41]
	s_and_saveexec_b64 s[22:23], vcc
	s_cbranch_execz .LBB5_459
; %bb.456:                              ;   in Loop: Header=BB5_398 Depth=2
	s_mov_b64 s[24:25], 0
.LBB5_457:                              ;   Parent Loop BB5_3 Depth=1
                                        ;     Parent Loop BB5_398 Depth=2
                                        ; =>    This Inner Loop Header: Depth=3
	s_sleep 1
	global_load_dwordx2 v[4:5], v3, s[2:3] offset:40
	global_load_dwordx2 v[9:10], v3, s[2:3]
	v_mov_b32_e32 v41, v1
	v_mov_b32_e32 v40, v0
	s_waitcnt vmcnt(1)
	v_and_b32_e32 v0, v4, v40
	s_waitcnt vmcnt(0)
	v_mad_u64_u32 v[0:1], s[26:27], v0, 24, v[9:10]
	v_and_b32_e32 v2, v5, v41
	v_mad_u64_u32 v[1:2], s[26:27], v2, 24, v[1:2]
	global_load_dwordx2 v[38:39], v[0:1], off glc
	s_waitcnt vmcnt(0)
	global_atomic_cmpswap_x2 v[0:1], v3, v[38:41], s[2:3] offset:24 glc
	s_waitcnt vmcnt(0)
	buffer_wbinvl1_vol
	v_cmp_eq_u64_e32 vcc, v[0:1], v[40:41]
	s_or_b64 s[24:25], vcc, s[24:25]
	s_andn2_b64 exec, exec, s[24:25]
	s_cbranch_execnz .LBB5_457
; %bb.458:                              ;   in Loop: Header=BB5_398 Depth=2
	s_or_b64 exec, exec, s[24:25]
.LBB5_459:                              ;   in Loop: Header=BB5_398 Depth=2
	s_or_b64 exec, exec, s[22:23]
.LBB5_460:                              ;   in Loop: Header=BB5_398 Depth=2
	s_or_b64 exec, exec, s[20:21]
	global_load_dwordx2 v[4:5], v3, s[2:3] offset:40
	global_load_dwordx4 v[38:41], v3, s[2:3]
	v_readfirstlane_b32 s21, v1
	v_readfirstlane_b32 s20, v0
	s_mov_b64 s[22:23], exec
	s_waitcnt vmcnt(1)
	v_readfirstlane_b32 s24, v4
	v_readfirstlane_b32 s25, v5
	s_and_b64 s[24:25], s[24:25], s[20:21]
	s_mul_i32 s26, s25, 24
	s_mul_hi_u32 s27, s24, 24
	s_mul_i32 s33, s24, 24
	s_add_i32 s26, s27, s26
	v_mov_b32_e32 v1, s26
	s_waitcnt vmcnt(0)
	v_add_co_u32_e32 v0, vcc, s33, v38
	v_addc_co_u32_e32 v1, vcc, v39, v1, vcc
	s_and_saveexec_b64 s[26:27], s[0:1]
	s_cbranch_execz .LBB5_462
; %bb.461:                              ;   in Loop: Header=BB5_398 Depth=2
	v_mov_b32_e32 v4, s22
	v_mov_b32_e32 v5, s23
	global_store_dwordx4 v[0:1], v[4:7], off offset:8
.LBB5_462:                              ;   in Loop: Header=BB5_398 Depth=2
	s_or_b64 exec, exec, s[26:27]
	s_lshl_b64 s[22:23], s[24:25], 12
	v_mov_b32_e32 v2, s23
	v_add_co_u32_e32 v40, vcc, s22, v40
	v_addc_co_u32_e32 v41, vcc, v41, v2, vcc
	v_cmp_lt_u64_e64 vcc, s[16:17], 57
	s_lshl_b32 s22, s18, 2
	v_cndmask_b32_e32 v2, 0, v11, vcc
	s_add_i32 s22, s22, 28
	v_and_b32_e32 v4, 0xffffff1f, v22
	s_and_b32 s22, s22, 0x1e0
	v_or_b32_e32 v2, v4, v2
	v_or_b32_e32 v22, s22, v2
	v_readfirstlane_b32 s22, v40
	v_readfirstlane_b32 s23, v41
	s_nop 4
	global_store_dwordx4 v53, v[22:25], s[22:23]
	global_store_dwordx4 v53, v[26:29], s[22:23] offset:16
	global_store_dwordx4 v53, v[30:33], s[22:23] offset:32
	;; [unrolled: 1-line block ×3, first 2 shown]
	s_and_saveexec_b64 s[22:23], s[0:1]
	s_cbranch_execz .LBB5_470
; %bb.463:                              ;   in Loop: Header=BB5_398 Depth=2
	global_load_dwordx2 v[26:27], v3, s[2:3] offset:32 glc
	global_load_dwordx2 v[4:5], v3, s[2:3] offset:40
	v_mov_b32_e32 v24, s20
	v_mov_b32_e32 v25, s21
	s_waitcnt vmcnt(0)
	v_readfirstlane_b32 s24, v4
	v_readfirstlane_b32 s25, v5
	s_and_b64 s[24:25], s[24:25], s[20:21]
	s_mul_i32 s25, s25, 24
	s_mul_hi_u32 s26, s24, 24
	s_mul_i32 s24, s24, 24
	s_add_i32 s25, s26, s25
	v_mov_b32_e32 v2, s25
	v_add_co_u32_e32 v4, vcc, s24, v38
	v_addc_co_u32_e32 v5, vcc, v39, v2, vcc
	global_store_dwordx2 v[4:5], v[26:27], off
	s_waitcnt vmcnt(0)
	global_atomic_cmpswap_x2 v[24:25], v3, v[24:27], s[2:3] offset:32 glc
	s_waitcnt vmcnt(0)
	v_cmp_ne_u64_e32 vcc, v[24:25], v[26:27]
	s_and_saveexec_b64 s[24:25], vcc
	s_cbranch_execz .LBB5_466
; %bb.464:                              ;   in Loop: Header=BB5_398 Depth=2
	s_mov_b64 s[26:27], 0
.LBB5_465:                              ;   Parent Loop BB5_3 Depth=1
                                        ;     Parent Loop BB5_398 Depth=2
                                        ; =>    This Inner Loop Header: Depth=3
	s_sleep 1
	global_store_dwordx2 v[4:5], v[24:25], off
	v_mov_b32_e32 v22, s20
	v_mov_b32_e32 v23, s21
	s_waitcnt vmcnt(0)
	global_atomic_cmpswap_x2 v[9:10], v3, v[22:25], s[2:3] offset:32 glc
	s_waitcnt vmcnt(0)
	v_cmp_eq_u64_e32 vcc, v[9:10], v[24:25]
	v_mov_b32_e32 v25, v10
	s_or_b64 s[26:27], vcc, s[26:27]
	v_mov_b32_e32 v24, v9
	s_andn2_b64 exec, exec, s[26:27]
	s_cbranch_execnz .LBB5_465
.LBB5_466:                              ;   in Loop: Header=BB5_398 Depth=2
	s_or_b64 exec, exec, s[24:25]
	global_load_dwordx2 v[4:5], v3, s[2:3] offset:16
	s_mov_b64 s[26:27], exec
	v_mbcnt_lo_u32_b32 v2, s26, 0
	v_mbcnt_hi_u32_b32 v2, s27, v2
	v_cmp_eq_u32_e32 vcc, 0, v2
	s_and_saveexec_b64 s[24:25], vcc
	s_cbranch_execz .LBB5_468
; %bb.467:                              ;   in Loop: Header=BB5_398 Depth=2
	s_bcnt1_i32_b64 s26, s[26:27]
	v_mov_b32_e32 v2, s26
	s_waitcnt vmcnt(0)
	global_atomic_add_x2 v[4:5], v[2:3], off offset:8
.LBB5_468:                              ;   in Loop: Header=BB5_398 Depth=2
	s_or_b64 exec, exec, s[24:25]
	s_waitcnt vmcnt(0)
	global_load_dwordx2 v[9:10], v[4:5], off offset:16
	s_waitcnt vmcnt(0)
	v_cmp_eq_u64_e32 vcc, 0, v[9:10]
	s_cbranch_vccnz .LBB5_470
; %bb.469:                              ;   in Loop: Header=BB5_398 Depth=2
	global_load_dword v2, v[4:5], off offset:24
	s_waitcnt vmcnt(0)
	v_readfirstlane_b32 s24, v2
	s_and_b32 m0, s24, 0xffffff
	global_store_dwordx2 v[9:10], v[2:3], off
	s_sendmsg sendmsg(MSG_INTERRUPT)
.LBB5_470:                              ;   in Loop: Header=BB5_398 Depth=2
	s_or_b64 exec, exec, s[22:23]
	v_add_co_u32_e32 v4, vcc, v40, v53
	v_addc_co_u32_e32 v5, vcc, 0, v41, vcc
	s_branch .LBB5_474
.LBB5_471:                              ;   in Loop: Header=BB5_474 Depth=3
	s_or_b64 exec, exec, s[22:23]
	v_readfirstlane_b32 s22, v2
	s_cmp_eq_u32 s22, 0
	s_cbranch_scc1 .LBB5_473
; %bb.472:                              ;   in Loop: Header=BB5_474 Depth=3
	s_sleep 1
	s_cbranch_execnz .LBB5_474
	s_branch .LBB5_476
.LBB5_473:                              ;   in Loop: Header=BB5_398 Depth=2
	s_branch .LBB5_476
.LBB5_474:                              ;   Parent Loop BB5_3 Depth=1
                                        ;     Parent Loop BB5_398 Depth=2
                                        ; =>    This Inner Loop Header: Depth=3
	v_mov_b32_e32 v2, 1
	s_and_saveexec_b64 s[22:23], s[0:1]
	s_cbranch_execz .LBB5_471
; %bb.475:                              ;   in Loop: Header=BB5_474 Depth=3
	global_load_dword v2, v[0:1], off offset:20 glc
	s_waitcnt vmcnt(0)
	buffer_wbinvl1_vol
	v_and_b32_e32 v2, 1, v2
	s_branch .LBB5_471
.LBB5_476:                              ;   in Loop: Header=BB5_398 Depth=2
	global_load_dwordx2 v[22:23], v[4:5], off
	s_and_saveexec_b64 s[22:23], s[0:1]
	s_cbranch_execz .LBB5_397
; %bb.477:                              ;   in Loop: Header=BB5_398 Depth=2
	global_load_dwordx2 v[0:1], v3, s[2:3] offset:40
	global_load_dwordx2 v[28:29], v3, s[2:3] offset:24 glc
	global_load_dwordx2 v[4:5], v3, s[2:3]
	s_waitcnt vmcnt(2)
	v_readfirstlane_b32 s24, v0
	v_readfirstlane_b32 s25, v1
	s_add_u32 s26, s24, 1
	s_addc_u32 s27, s25, 0
	s_add_u32 s0, s26, s20
	s_addc_u32 s1, s27, s21
	s_cmp_eq_u64 s[0:1], 0
	s_cselect_b32 s1, s27, s1
	s_cselect_b32 s0, s26, s0
	s_and_b64 s[20:21], s[0:1], s[24:25]
	s_mul_i32 s21, s21, 24
	s_mul_hi_u32 s24, s20, 24
	s_mul_i32 s20, s20, 24
	s_add_i32 s21, s24, s21
	v_mov_b32_e32 v1, s21
	s_waitcnt vmcnt(0)
	v_add_co_u32_e32 v0, vcc, s20, v4
	v_addc_co_u32_e32 v1, vcc, v5, v1, vcc
	v_mov_b32_e32 v26, s0
	global_store_dwordx2 v[0:1], v[28:29], off
	v_mov_b32_e32 v27, s1
	s_waitcnt vmcnt(0)
	global_atomic_cmpswap_x2 v[26:27], v3, v[26:29], s[2:3] offset:24 glc
	s_waitcnt vmcnt(0)
	v_cmp_ne_u64_e32 vcc, v[26:27], v[28:29]
	s_and_b64 exec, exec, vcc
	s_cbranch_execz .LBB5_397
; %bb.478:                              ;   in Loop: Header=BB5_398 Depth=2
	s_mov_b64 s[20:21], 0
.LBB5_479:                              ;   Parent Loop BB5_3 Depth=1
                                        ;     Parent Loop BB5_398 Depth=2
                                        ; =>    This Inner Loop Header: Depth=3
	s_sleep 1
	global_store_dwordx2 v[0:1], v[26:27], off
	v_mov_b32_e32 v24, s0
	v_mov_b32_e32 v25, s1
	s_waitcnt vmcnt(0)
	global_atomic_cmpswap_x2 v[4:5], v3, v[24:27], s[2:3] offset:24 glc
	s_waitcnt vmcnt(0)
	v_cmp_eq_u64_e32 vcc, v[4:5], v[26:27]
	v_mov_b32_e32 v27, v5
	s_or_b64 s[20:21], vcc, s[20:21]
	v_mov_b32_e32 v26, v4
	s_andn2_b64 exec, exec, s[20:21]
	s_cbranch_execnz .LBB5_479
	s_branch .LBB5_397
.LBB5_480:                              ;   in Loop: Header=BB5_3 Depth=1
	s_branch .LBB5_537
.LBB5_481:                              ;   in Loop: Header=BB5_3 Depth=1
                                        ; implicit-def: $vgpr20_vgpr21
	s_cbranch_execz .LBB5_395
; %bb.482:                              ;   in Loop: Header=BB5_3 Depth=1
	v_readfirstlane_b32 s0, v47
	v_mov_b32_e32 v4, 0
	v_mov_b32_e32 v5, 0
	v_cmp_eq_u32_e64 s[0:1], s0, v47
	s_and_saveexec_b64 s[14:15], s[0:1]
	s_cbranch_execz .LBB5_488
; %bb.483:                              ;   in Loop: Header=BB5_3 Depth=1
	global_load_dwordx2 v[22:23], v3, s[2:3] offset:24 glc
	s_waitcnt vmcnt(0)
	buffer_wbinvl1_vol
	global_load_dwordx2 v[4:5], v3, s[2:3] offset:40
	global_load_dwordx2 v[9:10], v3, s[2:3]
	s_waitcnt vmcnt(1)
	v_and_b32_e32 v2, v4, v22
	v_and_b32_e32 v4, v5, v23
	v_mul_lo_u32 v4, v4, 24
	v_mul_hi_u32 v5, v2, 24
	v_mul_lo_u32 v2, v2, 24
	v_add_u32_e32 v5, v5, v4
	s_waitcnt vmcnt(0)
	v_add_co_u32_e32 v4, vcc, v9, v2
	v_addc_co_u32_e32 v5, vcc, v10, v5, vcc
	global_load_dwordx2 v[20:21], v[4:5], off glc
	s_waitcnt vmcnt(0)
	global_atomic_cmpswap_x2 v[4:5], v3, v[20:23], s[2:3] offset:24 glc
	s_waitcnt vmcnt(0)
	buffer_wbinvl1_vol
	v_cmp_ne_u64_e32 vcc, v[4:5], v[22:23]
	s_and_saveexec_b64 s[16:17], vcc
	s_cbranch_execz .LBB5_487
; %bb.484:                              ;   in Loop: Header=BB5_3 Depth=1
	s_mov_b64 s[18:19], 0
.LBB5_485:                              ;   Parent Loop BB5_3 Depth=1
                                        ; =>  This Inner Loop Header: Depth=2
	s_sleep 1
	global_load_dwordx2 v[9:10], v3, s[2:3] offset:40
	global_load_dwordx2 v[20:21], v3, s[2:3]
	v_mov_b32_e32 v23, v5
	v_mov_b32_e32 v22, v4
	s_waitcnt vmcnt(1)
	v_and_b32_e32 v2, v9, v22
	s_waitcnt vmcnt(0)
	v_mad_u64_u32 v[4:5], s[20:21], v2, 24, v[20:21]
	v_and_b32_e32 v9, v10, v23
	v_mov_b32_e32 v2, v5
	v_mad_u64_u32 v[9:10], s[20:21], v9, 24, v[2:3]
	v_mov_b32_e32 v5, v9
	global_load_dwordx2 v[20:21], v[4:5], off glc
	s_waitcnt vmcnt(0)
	global_atomic_cmpswap_x2 v[4:5], v3, v[20:23], s[2:3] offset:24 glc
	s_waitcnt vmcnt(0)
	buffer_wbinvl1_vol
	v_cmp_eq_u64_e32 vcc, v[4:5], v[22:23]
	s_or_b64 s[18:19], vcc, s[18:19]
	s_andn2_b64 exec, exec, s[18:19]
	s_cbranch_execnz .LBB5_485
; %bb.486:                              ;   in Loop: Header=BB5_3 Depth=1
	s_or_b64 exec, exec, s[18:19]
.LBB5_487:                              ;   in Loop: Header=BB5_3 Depth=1
	s_or_b64 exec, exec, s[16:17]
.LBB5_488:                              ;   in Loop: Header=BB5_3 Depth=1
	s_or_b64 exec, exec, s[14:15]
	global_load_dwordx2 v[9:10], v3, s[2:3] offset:40
	global_load_dwordx4 v[20:23], v3, s[2:3]
	v_readfirstlane_b32 s15, v5
	v_readfirstlane_b32 s14, v4
	s_mov_b64 s[16:17], exec
	s_waitcnt vmcnt(1)
	v_readfirstlane_b32 s18, v9
	v_readfirstlane_b32 s19, v10
	s_and_b64 s[18:19], s[18:19], s[14:15]
	s_mul_i32 s20, s19, 24
	s_mul_hi_u32 s21, s18, 24
	s_mul_i32 s22, s18, 24
	s_add_i32 s20, s21, s20
	v_mov_b32_e32 v2, s20
	s_waitcnt vmcnt(0)
	v_add_co_u32_e32 v9, vcc, s22, v20
	v_addc_co_u32_e32 v10, vcc, v21, v2, vcc
	s_and_saveexec_b64 s[20:21], s[0:1]
	s_cbranch_execz .LBB5_490
; %bb.489:                              ;   in Loop: Header=BB5_3 Depth=1
	v_mov_b32_e32 v4, s16
	v_mov_b32_e32 v5, s17
	global_store_dwordx4 v[9:10], v[4:7], off offset:8
.LBB5_490:                              ;   in Loop: Header=BB5_3 Depth=1
	s_or_b64 exec, exec, s[20:21]
	s_lshl_b64 s[16:17], s[18:19], 12
	v_mov_b32_e32 v2, s17
	v_add_co_u32_e32 v11, vcc, s16, v22
	v_addc_co_u32_e32 v24, vcc, v23, v2, vcc
	v_mov_b32_e32 v28, s11
	v_and_or_b32 v0, v0, s29, 32
	v_mov_b32_e32 v2, v3
	v_readfirstlane_b32 s16, v11
	v_readfirstlane_b32 s17, v24
	v_mov_b32_e32 v27, s10
	v_mov_b32_e32 v26, s9
	;; [unrolled: 1-line block ×3, first 2 shown]
	s_nop 1
	global_store_dwordx4 v53, v[0:3], s[16:17]
	global_store_dwordx4 v53, v[25:28], s[16:17] offset:16
	global_store_dwordx4 v53, v[25:28], s[16:17] offset:32
	;; [unrolled: 1-line block ×3, first 2 shown]
	s_and_saveexec_b64 s[16:17], s[0:1]
	s_cbranch_execz .LBB5_498
; %bb.491:                              ;   in Loop: Header=BB5_3 Depth=1
	global_load_dwordx2 v[27:28], v3, s[2:3] offset:32 glc
	global_load_dwordx2 v[0:1], v3, s[2:3] offset:40
	v_mov_b32_e32 v25, s14
	v_mov_b32_e32 v26, s15
	s_waitcnt vmcnt(0)
	v_readfirstlane_b32 s18, v0
	v_readfirstlane_b32 s19, v1
	s_and_b64 s[18:19], s[18:19], s[14:15]
	s_mul_i32 s19, s19, 24
	s_mul_hi_u32 s20, s18, 24
	s_mul_i32 s18, s18, 24
	s_add_i32 s19, s20, s19
	v_mov_b32_e32 v1, s19
	v_add_co_u32_e32 v0, vcc, s18, v20
	v_addc_co_u32_e32 v1, vcc, v21, v1, vcc
	global_store_dwordx2 v[0:1], v[27:28], off
	s_waitcnt vmcnt(0)
	global_atomic_cmpswap_x2 v[22:23], v3, v[25:28], s[2:3] offset:32 glc
	s_waitcnt vmcnt(0)
	v_cmp_ne_u64_e32 vcc, v[22:23], v[27:28]
	s_and_saveexec_b64 s[18:19], vcc
	s_cbranch_execz .LBB5_494
; %bb.492:                              ;   in Loop: Header=BB5_3 Depth=1
	s_mov_b64 s[20:21], 0
.LBB5_493:                              ;   Parent Loop BB5_3 Depth=1
                                        ; =>  This Inner Loop Header: Depth=2
	s_sleep 1
	global_store_dwordx2 v[0:1], v[22:23], off
	v_mov_b32_e32 v20, s14
	v_mov_b32_e32 v21, s15
	s_waitcnt vmcnt(0)
	global_atomic_cmpswap_x2 v[4:5], v3, v[20:23], s[2:3] offset:32 glc
	s_waitcnt vmcnt(0)
	v_cmp_eq_u64_e32 vcc, v[4:5], v[22:23]
	v_mov_b32_e32 v23, v5
	s_or_b64 s[20:21], vcc, s[20:21]
	v_mov_b32_e32 v22, v4
	s_andn2_b64 exec, exec, s[20:21]
	s_cbranch_execnz .LBB5_493
.LBB5_494:                              ;   in Loop: Header=BB5_3 Depth=1
	s_or_b64 exec, exec, s[18:19]
	global_load_dwordx2 v[0:1], v3, s[2:3] offset:16
	s_mov_b64 s[20:21], exec
	v_mbcnt_lo_u32_b32 v2, s20, 0
	v_mbcnt_hi_u32_b32 v2, s21, v2
	v_cmp_eq_u32_e32 vcc, 0, v2
	s_and_saveexec_b64 s[18:19], vcc
	s_cbranch_execz .LBB5_496
; %bb.495:                              ;   in Loop: Header=BB5_3 Depth=1
	s_bcnt1_i32_b64 s20, s[20:21]
	v_mov_b32_e32 v2, s20
	s_waitcnt vmcnt(0)
	global_atomic_add_x2 v[0:1], v[2:3], off offset:8
.LBB5_496:                              ;   in Loop: Header=BB5_3 Depth=1
	s_or_b64 exec, exec, s[18:19]
	s_waitcnt vmcnt(0)
	global_load_dwordx2 v[4:5], v[0:1], off offset:16
	s_waitcnt vmcnt(0)
	v_cmp_eq_u64_e32 vcc, 0, v[4:5]
	s_cbranch_vccnz .LBB5_498
; %bb.497:                              ;   in Loop: Header=BB5_3 Depth=1
	global_load_dword v2, v[0:1], off offset:24
	s_waitcnt vmcnt(0)
	v_readfirstlane_b32 s18, v2
	s_and_b32 m0, s18, 0xffffff
	global_store_dwordx2 v[4:5], v[2:3], off
	s_sendmsg sendmsg(MSG_INTERRUPT)
.LBB5_498:                              ;   in Loop: Header=BB5_3 Depth=1
	s_or_b64 exec, exec, s[16:17]
	v_add_co_u32_e32 v0, vcc, v11, v53
	v_addc_co_u32_e32 v1, vcc, 0, v24, vcc
	s_branch .LBB5_502
.LBB5_499:                              ;   in Loop: Header=BB5_502 Depth=2
	s_or_b64 exec, exec, s[16:17]
	v_readfirstlane_b32 s16, v2
	s_cmp_eq_u32 s16, 0
	s_cbranch_scc1 .LBB5_501
; %bb.500:                              ;   in Loop: Header=BB5_502 Depth=2
	s_sleep 1
	s_cbranch_execnz .LBB5_502
	s_branch .LBB5_504
.LBB5_501:                              ;   in Loop: Header=BB5_3 Depth=1
	s_branch .LBB5_504
.LBB5_502:                              ;   Parent Loop BB5_3 Depth=1
                                        ; =>  This Inner Loop Header: Depth=2
	v_mov_b32_e32 v2, 1
	s_and_saveexec_b64 s[16:17], s[0:1]
	s_cbranch_execz .LBB5_499
; %bb.503:                              ;   in Loop: Header=BB5_502 Depth=2
	global_load_dword v2, v[9:10], off offset:20 glc
	s_waitcnt vmcnt(0)
	buffer_wbinvl1_vol
	v_and_b32_e32 v2, 1, v2
	s_branch .LBB5_499
.LBB5_504:                              ;   in Loop: Header=BB5_3 Depth=1
	global_load_dwordx2 v[20:21], v[0:1], off
	s_and_saveexec_b64 s[16:17], s[0:1]
	s_cbranch_execz .LBB5_508
; %bb.505:                              ;   in Loop: Header=BB5_3 Depth=1
	global_load_dwordx2 v[0:1], v3, s[2:3] offset:40
	global_load_dwordx2 v[26:27], v3, s[2:3] offset:24 glc
	global_load_dwordx2 v[4:5], v3, s[2:3]
	s_waitcnt vmcnt(2)
	v_readfirstlane_b32 s18, v0
	v_readfirstlane_b32 s19, v1
	s_add_u32 s20, s18, 1
	s_addc_u32 s21, s19, 0
	s_add_u32 s0, s20, s14
	s_addc_u32 s1, s21, s15
	s_cmp_eq_u64 s[0:1], 0
	s_cselect_b32 s1, s21, s1
	s_cselect_b32 s0, s20, s0
	s_and_b64 s[14:15], s[0:1], s[18:19]
	s_mul_i32 s15, s15, 24
	s_mul_hi_u32 s18, s14, 24
	s_mul_i32 s14, s14, 24
	s_add_i32 s15, s18, s15
	v_mov_b32_e32 v1, s15
	s_waitcnt vmcnt(0)
	v_add_co_u32_e32 v0, vcc, s14, v4
	v_addc_co_u32_e32 v1, vcc, v5, v1, vcc
	v_mov_b32_e32 v24, s0
	global_store_dwordx2 v[0:1], v[26:27], off
	v_mov_b32_e32 v25, s1
	s_waitcnt vmcnt(0)
	global_atomic_cmpswap_x2 v[24:25], v3, v[24:27], s[2:3] offset:24 glc
	s_waitcnt vmcnt(0)
	v_cmp_ne_u64_e32 vcc, v[24:25], v[26:27]
	s_and_b64 exec, exec, vcc
	s_cbranch_execz .LBB5_508
; %bb.506:                              ;   in Loop: Header=BB5_3 Depth=1
	s_mov_b64 s[14:15], 0
.LBB5_507:                              ;   Parent Loop BB5_3 Depth=1
                                        ; =>  This Inner Loop Header: Depth=2
	s_sleep 1
	global_store_dwordx2 v[0:1], v[24:25], off
	v_mov_b32_e32 v22, s0
	v_mov_b32_e32 v23, s1
	s_waitcnt vmcnt(0)
	global_atomic_cmpswap_x2 v[4:5], v3, v[22:25], s[2:3] offset:24 glc
	s_waitcnt vmcnt(0)
	v_cmp_eq_u64_e32 vcc, v[4:5], v[24:25]
	v_mov_b32_e32 v25, v5
	s_or_b64 s[14:15], vcc, s[14:15]
	v_mov_b32_e32 v24, v4
	s_andn2_b64 exec, exec, s[14:15]
	s_cbranch_execnz .LBB5_507
.LBB5_508:                              ;   in Loop: Header=BB5_3 Depth=1
	s_or_b64 exec, exec, s[16:17]
	s_and_b64 vcc, exec, s[12:13]
	s_cbranch_vccnz .LBB5_396
.LBB5_509:                              ;   in Loop: Header=BB5_3 Depth=1
                                        ; implicit-def: $vgpr22_vgpr23
	s_cbranch_execz .LBB5_537
; %bb.510:                              ;   in Loop: Header=BB5_3 Depth=1
	v_readfirstlane_b32 s0, v47
	s_waitcnt vmcnt(0)
	v_mov_b32_e32 v0, 0
	v_mov_b32_e32 v1, 0
	v_cmp_eq_u32_e64 s[0:1], s0, v47
	s_and_saveexec_b64 s[14:15], s[0:1]
	s_cbranch_execz .LBB5_516
; %bb.511:                              ;   in Loop: Header=BB5_3 Depth=1
	global_load_dwordx2 v[24:25], v3, s[2:3] offset:24 glc
	s_waitcnt vmcnt(0)
	buffer_wbinvl1_vol
	global_load_dwordx2 v[0:1], v3, s[2:3] offset:40
	global_load_dwordx2 v[4:5], v3, s[2:3]
	s_waitcnt vmcnt(1)
	v_and_b32_e32 v0, v0, v24
	v_and_b32_e32 v1, v1, v25
	v_mul_lo_u32 v1, v1, 24
	v_mul_hi_u32 v2, v0, 24
	v_mul_lo_u32 v0, v0, 24
	v_add_u32_e32 v1, v2, v1
	s_waitcnt vmcnt(0)
	v_add_co_u32_e32 v0, vcc, v4, v0
	v_addc_co_u32_e32 v1, vcc, v5, v1, vcc
	global_load_dwordx2 v[22:23], v[0:1], off glc
	s_waitcnt vmcnt(0)
	global_atomic_cmpswap_x2 v[0:1], v3, v[22:25], s[2:3] offset:24 glc
	s_waitcnt vmcnt(0)
	buffer_wbinvl1_vol
	v_cmp_ne_u64_e32 vcc, v[0:1], v[24:25]
	s_and_saveexec_b64 s[16:17], vcc
	s_cbranch_execz .LBB5_515
; %bb.512:                              ;   in Loop: Header=BB5_3 Depth=1
	s_mov_b64 s[18:19], 0
.LBB5_513:                              ;   Parent Loop BB5_3 Depth=1
                                        ; =>  This Inner Loop Header: Depth=2
	s_sleep 1
	global_load_dwordx2 v[4:5], v3, s[2:3] offset:40
	global_load_dwordx2 v[9:10], v3, s[2:3]
	v_mov_b32_e32 v25, v1
	v_mov_b32_e32 v24, v0
	s_waitcnt vmcnt(1)
	v_and_b32_e32 v0, v4, v24
	s_waitcnt vmcnt(0)
	v_mad_u64_u32 v[0:1], s[20:21], v0, 24, v[9:10]
	v_and_b32_e32 v2, v5, v25
	v_mad_u64_u32 v[1:2], s[20:21], v2, 24, v[1:2]
	global_load_dwordx2 v[22:23], v[0:1], off glc
	s_waitcnt vmcnt(0)
	global_atomic_cmpswap_x2 v[0:1], v3, v[22:25], s[2:3] offset:24 glc
	s_waitcnt vmcnt(0)
	buffer_wbinvl1_vol
	v_cmp_eq_u64_e32 vcc, v[0:1], v[24:25]
	s_or_b64 s[18:19], vcc, s[18:19]
	s_andn2_b64 exec, exec, s[18:19]
	s_cbranch_execnz .LBB5_513
; %bb.514:                              ;   in Loop: Header=BB5_3 Depth=1
	s_or_b64 exec, exec, s[18:19]
.LBB5_515:                              ;   in Loop: Header=BB5_3 Depth=1
	s_or_b64 exec, exec, s[16:17]
.LBB5_516:                              ;   in Loop: Header=BB5_3 Depth=1
	s_or_b64 exec, exec, s[14:15]
	global_load_dwordx2 v[4:5], v3, s[2:3] offset:40
	global_load_dwordx4 v[24:27], v3, s[2:3]
	v_readfirstlane_b32 s15, v1
	v_readfirstlane_b32 s14, v0
	s_mov_b64 s[16:17], exec
	s_waitcnt vmcnt(1)
	v_readfirstlane_b32 s18, v4
	v_readfirstlane_b32 s19, v5
	s_and_b64 s[18:19], s[18:19], s[14:15]
	s_mul_i32 s20, s19, 24
	s_mul_hi_u32 s21, s18, 24
	s_mul_i32 s22, s18, 24
	s_add_i32 s20, s21, s20
	v_mov_b32_e32 v1, s20
	s_waitcnt vmcnt(0)
	v_add_co_u32_e32 v0, vcc, s22, v24
	v_addc_co_u32_e32 v1, vcc, v25, v1, vcc
	s_and_saveexec_b64 s[20:21], s[0:1]
	s_cbranch_execz .LBB5_518
; %bb.517:                              ;   in Loop: Header=BB5_3 Depth=1
	v_mov_b32_e32 v4, s16
	v_mov_b32_e32 v5, s17
	global_store_dwordx4 v[0:1], v[4:7], off offset:8
.LBB5_518:                              ;   in Loop: Header=BB5_3 Depth=1
	s_or_b64 exec, exec, s[20:21]
	s_lshl_b64 s[16:17], s[18:19], 12
	v_mov_b32_e32 v2, s17
	v_add_co_u32_e32 v11, vcc, s16, v26
	v_addc_co_u32_e32 v26, vcc, v27, v2, vcc
	v_and_or_b32 v20, v20, s29, 32
	v_mov_b32_e32 v22, v3
	v_mov_b32_e32 v23, v3
	v_readfirstlane_b32 s16, v11
	v_readfirstlane_b32 s17, v26
	s_nop 4
	global_store_dwordx4 v53, v[20:23], s[16:17]
	s_nop 0
	v_mov_b32_e32 v23, s11
	v_mov_b32_e32 v22, s10
	;; [unrolled: 1-line block ×4, first 2 shown]
	global_store_dwordx4 v53, v[20:23], s[16:17] offset:16
	global_store_dwordx4 v53, v[20:23], s[16:17] offset:32
	;; [unrolled: 1-line block ×3, first 2 shown]
	s_and_saveexec_b64 s[16:17], s[0:1]
	s_cbranch_execz .LBB5_526
; %bb.519:                              ;   in Loop: Header=BB5_3 Depth=1
	global_load_dwordx2 v[29:30], v3, s[2:3] offset:32 glc
	global_load_dwordx2 v[4:5], v3, s[2:3] offset:40
	v_mov_b32_e32 v27, s14
	v_mov_b32_e32 v28, s15
	s_waitcnt vmcnt(0)
	v_readfirstlane_b32 s18, v4
	v_readfirstlane_b32 s19, v5
	s_and_b64 s[18:19], s[18:19], s[14:15]
	s_mul_i32 s19, s19, 24
	s_mul_hi_u32 s20, s18, 24
	s_mul_i32 s18, s18, 24
	s_add_i32 s19, s20, s19
	v_mov_b32_e32 v2, s19
	v_add_co_u32_e32 v4, vcc, s18, v24
	v_addc_co_u32_e32 v5, vcc, v25, v2, vcc
	global_store_dwordx2 v[4:5], v[29:30], off
	s_waitcnt vmcnt(0)
	global_atomic_cmpswap_x2 v[22:23], v3, v[27:30], s[2:3] offset:32 glc
	s_waitcnt vmcnt(0)
	v_cmp_ne_u64_e32 vcc, v[22:23], v[29:30]
	s_and_saveexec_b64 s[18:19], vcc
	s_cbranch_execz .LBB5_522
; %bb.520:                              ;   in Loop: Header=BB5_3 Depth=1
	s_mov_b64 s[20:21], 0
.LBB5_521:                              ;   Parent Loop BB5_3 Depth=1
                                        ; =>  This Inner Loop Header: Depth=2
	s_sleep 1
	global_store_dwordx2 v[4:5], v[22:23], off
	v_mov_b32_e32 v20, s14
	v_mov_b32_e32 v21, s15
	s_waitcnt vmcnt(0)
	global_atomic_cmpswap_x2 v[9:10], v3, v[20:23], s[2:3] offset:32 glc
	s_waitcnt vmcnt(0)
	v_cmp_eq_u64_e32 vcc, v[9:10], v[22:23]
	v_mov_b32_e32 v23, v10
	s_or_b64 s[20:21], vcc, s[20:21]
	v_mov_b32_e32 v22, v9
	s_andn2_b64 exec, exec, s[20:21]
	s_cbranch_execnz .LBB5_521
.LBB5_522:                              ;   in Loop: Header=BB5_3 Depth=1
	s_or_b64 exec, exec, s[18:19]
	global_load_dwordx2 v[4:5], v3, s[2:3] offset:16
	s_mov_b64 s[20:21], exec
	v_mbcnt_lo_u32_b32 v2, s20, 0
	v_mbcnt_hi_u32_b32 v2, s21, v2
	v_cmp_eq_u32_e32 vcc, 0, v2
	s_and_saveexec_b64 s[18:19], vcc
	s_cbranch_execz .LBB5_524
; %bb.523:                              ;   in Loop: Header=BB5_3 Depth=1
	s_bcnt1_i32_b64 s20, s[20:21]
	v_mov_b32_e32 v2, s20
	s_waitcnt vmcnt(0)
	global_atomic_add_x2 v[4:5], v[2:3], off offset:8
.LBB5_524:                              ;   in Loop: Header=BB5_3 Depth=1
	s_or_b64 exec, exec, s[18:19]
	s_waitcnt vmcnt(0)
	global_load_dwordx2 v[9:10], v[4:5], off offset:16
	s_waitcnt vmcnt(0)
	v_cmp_eq_u64_e32 vcc, 0, v[9:10]
	s_cbranch_vccnz .LBB5_526
; %bb.525:                              ;   in Loop: Header=BB5_3 Depth=1
	global_load_dword v2, v[4:5], off offset:24
	s_waitcnt vmcnt(0)
	v_readfirstlane_b32 s18, v2
	s_and_b32 m0, s18, 0xffffff
	global_store_dwordx2 v[9:10], v[2:3], off
	s_sendmsg sendmsg(MSG_INTERRUPT)
.LBB5_526:                              ;   in Loop: Header=BB5_3 Depth=1
	s_or_b64 exec, exec, s[16:17]
	v_add_co_u32_e32 v4, vcc, v11, v53
	v_addc_co_u32_e32 v5, vcc, 0, v26, vcc
	s_branch .LBB5_530
.LBB5_527:                              ;   in Loop: Header=BB5_530 Depth=2
	s_or_b64 exec, exec, s[16:17]
	v_readfirstlane_b32 s16, v2
	s_cmp_eq_u32 s16, 0
	s_cbranch_scc1 .LBB5_529
; %bb.528:                              ;   in Loop: Header=BB5_530 Depth=2
	s_sleep 1
	s_cbranch_execnz .LBB5_530
	s_branch .LBB5_532
.LBB5_529:                              ;   in Loop: Header=BB5_3 Depth=1
	s_branch .LBB5_532
.LBB5_530:                              ;   Parent Loop BB5_3 Depth=1
                                        ; =>  This Inner Loop Header: Depth=2
	v_mov_b32_e32 v2, 1
	s_and_saveexec_b64 s[16:17], s[0:1]
	s_cbranch_execz .LBB5_527
; %bb.531:                              ;   in Loop: Header=BB5_530 Depth=2
	global_load_dword v2, v[0:1], off offset:20 glc
	s_waitcnt vmcnt(0)
	buffer_wbinvl1_vol
	v_and_b32_e32 v2, 1, v2
	s_branch .LBB5_527
.LBB5_532:                              ;   in Loop: Header=BB5_3 Depth=1
	global_load_dwordx2 v[22:23], v[4:5], off
	s_and_saveexec_b64 s[16:17], s[0:1]
	s_cbranch_execz .LBB5_536
; %bb.533:                              ;   in Loop: Header=BB5_3 Depth=1
	global_load_dwordx2 v[0:1], v3, s[2:3] offset:40
	global_load_dwordx2 v[28:29], v3, s[2:3] offset:24 glc
	global_load_dwordx2 v[4:5], v3, s[2:3]
	s_waitcnt vmcnt(2)
	v_readfirstlane_b32 s18, v0
	v_readfirstlane_b32 s19, v1
	s_add_u32 s20, s18, 1
	s_addc_u32 s21, s19, 0
	s_add_u32 s0, s20, s14
	s_addc_u32 s1, s21, s15
	s_cmp_eq_u64 s[0:1], 0
	s_cselect_b32 s1, s21, s1
	s_cselect_b32 s0, s20, s0
	s_and_b64 s[14:15], s[0:1], s[18:19]
	s_mul_i32 s15, s15, 24
	s_mul_hi_u32 s18, s14, 24
	s_mul_i32 s14, s14, 24
	s_add_i32 s15, s18, s15
	v_mov_b32_e32 v1, s15
	s_waitcnt vmcnt(0)
	v_add_co_u32_e32 v0, vcc, s14, v4
	v_addc_co_u32_e32 v1, vcc, v5, v1, vcc
	v_mov_b32_e32 v26, s0
	global_store_dwordx2 v[0:1], v[28:29], off
	v_mov_b32_e32 v27, s1
	s_waitcnt vmcnt(0)
	global_atomic_cmpswap_x2 v[26:27], v3, v[26:29], s[2:3] offset:24 glc
	s_waitcnt vmcnt(0)
	v_cmp_ne_u64_e32 vcc, v[26:27], v[28:29]
	s_and_b64 exec, exec, vcc
	s_cbranch_execz .LBB5_536
; %bb.534:                              ;   in Loop: Header=BB5_3 Depth=1
	s_mov_b64 s[14:15], 0
.LBB5_535:                              ;   Parent Loop BB5_3 Depth=1
                                        ; =>  This Inner Loop Header: Depth=2
	s_sleep 1
	global_store_dwordx2 v[0:1], v[26:27], off
	v_mov_b32_e32 v24, s0
	v_mov_b32_e32 v25, s1
	s_waitcnt vmcnt(0)
	global_atomic_cmpswap_x2 v[4:5], v3, v[24:27], s[2:3] offset:24 glc
	s_waitcnt vmcnt(0)
	v_cmp_eq_u64_e32 vcc, v[4:5], v[26:27]
	v_mov_b32_e32 v27, v5
	s_or_b64 s[14:15], vcc, s[14:15]
	v_mov_b32_e32 v26, v4
	s_andn2_b64 exec, exec, s[14:15]
	s_cbranch_execnz .LBB5_535
.LBB5_536:                              ;   in Loop: Header=BB5_3 Depth=1
	s_or_b64 exec, exec, s[16:17]
.LBB5_537:                              ;   in Loop: Header=BB5_3 Depth=1
	v_readfirstlane_b32 s0, v47
	s_waitcnt vmcnt(0)
	v_mov_b32_e32 v0, 0
	v_mov_b32_e32 v1, 0
	v_cmp_eq_u32_e64 s[0:1], s0, v47
	s_and_saveexec_b64 s[14:15], s[0:1]
	s_cbranch_execz .LBB5_543
; %bb.538:                              ;   in Loop: Header=BB5_3 Depth=1
	global_load_dwordx2 v[26:27], v3, s[2:3] offset:24 glc
	s_waitcnt vmcnt(0)
	buffer_wbinvl1_vol
	global_load_dwordx2 v[0:1], v3, s[2:3] offset:40
	global_load_dwordx2 v[4:5], v3, s[2:3]
	s_waitcnt vmcnt(1)
	v_and_b32_e32 v0, v0, v26
	v_and_b32_e32 v1, v1, v27
	v_mul_lo_u32 v1, v1, 24
	v_mul_hi_u32 v2, v0, 24
	v_mul_lo_u32 v0, v0, 24
	v_add_u32_e32 v1, v2, v1
	s_waitcnt vmcnt(0)
	v_add_co_u32_e32 v0, vcc, v4, v0
	v_addc_co_u32_e32 v1, vcc, v5, v1, vcc
	global_load_dwordx2 v[24:25], v[0:1], off glc
	s_waitcnt vmcnt(0)
	global_atomic_cmpswap_x2 v[0:1], v3, v[24:27], s[2:3] offset:24 glc
	s_waitcnt vmcnt(0)
	buffer_wbinvl1_vol
	v_cmp_ne_u64_e32 vcc, v[0:1], v[26:27]
	s_and_saveexec_b64 s[16:17], vcc
	s_cbranch_execz .LBB5_542
; %bb.539:                              ;   in Loop: Header=BB5_3 Depth=1
	s_mov_b64 s[18:19], 0
.LBB5_540:                              ;   Parent Loop BB5_3 Depth=1
                                        ; =>  This Inner Loop Header: Depth=2
	s_sleep 1
	global_load_dwordx2 v[4:5], v3, s[2:3] offset:40
	global_load_dwordx2 v[9:10], v3, s[2:3]
	v_mov_b32_e32 v27, v1
	v_mov_b32_e32 v26, v0
	s_waitcnt vmcnt(1)
	v_and_b32_e32 v0, v4, v26
	s_waitcnt vmcnt(0)
	v_mad_u64_u32 v[0:1], s[20:21], v0, 24, v[9:10]
	v_and_b32_e32 v2, v5, v27
	v_mad_u64_u32 v[1:2], s[20:21], v2, 24, v[1:2]
	global_load_dwordx2 v[24:25], v[0:1], off glc
	s_waitcnt vmcnt(0)
	global_atomic_cmpswap_x2 v[0:1], v3, v[24:27], s[2:3] offset:24 glc
	s_waitcnt vmcnt(0)
	buffer_wbinvl1_vol
	v_cmp_eq_u64_e32 vcc, v[0:1], v[26:27]
	s_or_b64 s[18:19], vcc, s[18:19]
	s_andn2_b64 exec, exec, s[18:19]
	s_cbranch_execnz .LBB5_540
; %bb.541:                              ;   in Loop: Header=BB5_3 Depth=1
	s_or_b64 exec, exec, s[18:19]
.LBB5_542:                              ;   in Loop: Header=BB5_3 Depth=1
	s_or_b64 exec, exec, s[16:17]
.LBB5_543:                              ;   in Loop: Header=BB5_3 Depth=1
	s_or_b64 exec, exec, s[14:15]
	global_load_dwordx2 v[4:5], v3, s[2:3] offset:40
	global_load_dwordx4 v[26:29], v3, s[2:3]
	v_readfirstlane_b32 s15, v1
	v_readfirstlane_b32 s14, v0
	s_mov_b64 s[16:17], exec
	s_waitcnt vmcnt(1)
	v_readfirstlane_b32 s18, v4
	v_readfirstlane_b32 s19, v5
	s_and_b64 s[18:19], s[18:19], s[14:15]
	s_mul_i32 s20, s19, 24
	s_mul_hi_u32 s21, s18, 24
	s_mul_i32 s22, s18, 24
	s_add_i32 s20, s21, s20
	v_mov_b32_e32 v1, s20
	s_waitcnt vmcnt(0)
	v_add_co_u32_e32 v0, vcc, s22, v26
	v_addc_co_u32_e32 v1, vcc, v27, v1, vcc
	s_and_saveexec_b64 s[20:21], s[0:1]
	s_cbranch_execz .LBB5_545
; %bb.544:                              ;   in Loop: Header=BB5_3 Depth=1
	v_mov_b32_e32 v4, s16
	v_mov_b32_e32 v5, s17
	global_store_dwordx4 v[0:1], v[4:7], off offset:8
.LBB5_545:                              ;   in Loop: Header=BB5_3 Depth=1
	s_or_b64 exec, exec, s[20:21]
	s_lshl_b64 s[16:17], s[18:19], 12
	v_mov_b32_e32 v2, s17
	v_add_co_u32_e32 v11, vcc, s16, v28
	v_addc_co_u32_e32 v28, vcc, v29, v2, vcc
	v_and_or_b32 v22, v22, s30, 34
	v_mov_b32_e32 v24, v44
	v_mov_b32_e32 v25, v3
	v_readfirstlane_b32 s16, v11
	v_readfirstlane_b32 s17, v28
	s_nop 4
	global_store_dwordx4 v53, v[22:25], s[16:17]
	s_nop 0
	v_mov_b32_e32 v23, s11
	v_mov_b32_e32 v22, s10
	;; [unrolled: 1-line block ×4, first 2 shown]
	global_store_dwordx4 v53, v[20:23], s[16:17] offset:16
	global_store_dwordx4 v53, v[20:23], s[16:17] offset:32
	;; [unrolled: 1-line block ×3, first 2 shown]
	s_and_saveexec_b64 s[16:17], s[0:1]
	s_cbranch_execz .LBB5_553
; %bb.546:                              ;   in Loop: Header=BB5_3 Depth=1
	global_load_dwordx2 v[24:25], v3, s[2:3] offset:32 glc
	global_load_dwordx2 v[4:5], v3, s[2:3] offset:40
	v_mov_b32_e32 v22, s14
	v_mov_b32_e32 v23, s15
	s_waitcnt vmcnt(0)
	v_readfirstlane_b32 s18, v4
	v_readfirstlane_b32 s19, v5
	s_and_b64 s[18:19], s[18:19], s[14:15]
	s_mul_i32 s19, s19, 24
	s_mul_hi_u32 s20, s18, 24
	s_mul_i32 s18, s18, 24
	s_add_i32 s19, s20, s19
	v_mov_b32_e32 v2, s19
	v_add_co_u32_e32 v4, vcc, s18, v26
	v_addc_co_u32_e32 v5, vcc, v27, v2, vcc
	global_store_dwordx2 v[4:5], v[24:25], off
	s_waitcnt vmcnt(0)
	global_atomic_cmpswap_x2 v[22:23], v3, v[22:25], s[2:3] offset:32 glc
	s_waitcnt vmcnt(0)
	v_cmp_ne_u64_e32 vcc, v[22:23], v[24:25]
	s_and_saveexec_b64 s[18:19], vcc
	s_cbranch_execz .LBB5_549
; %bb.547:                              ;   in Loop: Header=BB5_3 Depth=1
	s_mov_b64 s[20:21], 0
.LBB5_548:                              ;   Parent Loop BB5_3 Depth=1
                                        ; =>  This Inner Loop Header: Depth=2
	s_sleep 1
	global_store_dwordx2 v[4:5], v[22:23], off
	v_mov_b32_e32 v20, s14
	v_mov_b32_e32 v21, s15
	s_waitcnt vmcnt(0)
	global_atomic_cmpswap_x2 v[9:10], v3, v[20:23], s[2:3] offset:32 glc
	s_waitcnt vmcnt(0)
	v_cmp_eq_u64_e32 vcc, v[9:10], v[22:23]
	v_mov_b32_e32 v23, v10
	s_or_b64 s[20:21], vcc, s[20:21]
	v_mov_b32_e32 v22, v9
	s_andn2_b64 exec, exec, s[20:21]
	s_cbranch_execnz .LBB5_548
.LBB5_549:                              ;   in Loop: Header=BB5_3 Depth=1
	s_or_b64 exec, exec, s[18:19]
	global_load_dwordx2 v[4:5], v3, s[2:3] offset:16
	s_mov_b64 s[20:21], exec
	v_mbcnt_lo_u32_b32 v2, s20, 0
	v_mbcnt_hi_u32_b32 v2, s21, v2
	v_cmp_eq_u32_e32 vcc, 0, v2
	s_and_saveexec_b64 s[18:19], vcc
	s_cbranch_execz .LBB5_551
; %bb.550:                              ;   in Loop: Header=BB5_3 Depth=1
	s_bcnt1_i32_b64 s20, s[20:21]
	v_mov_b32_e32 v2, s20
	s_waitcnt vmcnt(0)
	global_atomic_add_x2 v[4:5], v[2:3], off offset:8
.LBB5_551:                              ;   in Loop: Header=BB5_3 Depth=1
	s_or_b64 exec, exec, s[18:19]
	s_waitcnt vmcnt(0)
	global_load_dwordx2 v[9:10], v[4:5], off offset:16
	s_waitcnt vmcnt(0)
	v_cmp_eq_u64_e32 vcc, 0, v[9:10]
	s_cbranch_vccnz .LBB5_553
; %bb.552:                              ;   in Loop: Header=BB5_3 Depth=1
	global_load_dword v2, v[4:5], off offset:24
	s_waitcnt vmcnt(0)
	v_readfirstlane_b32 s18, v2
	s_and_b32 m0, s18, 0xffffff
	global_store_dwordx2 v[9:10], v[2:3], off
	s_sendmsg sendmsg(MSG_INTERRUPT)
.LBB5_553:                              ;   in Loop: Header=BB5_3 Depth=1
	s_or_b64 exec, exec, s[16:17]
	v_add_co_u32_e32 v4, vcc, v11, v53
	v_addc_co_u32_e32 v5, vcc, 0, v28, vcc
	s_branch .LBB5_557
.LBB5_554:                              ;   in Loop: Header=BB5_557 Depth=2
	s_or_b64 exec, exec, s[16:17]
	v_readfirstlane_b32 s16, v2
	s_cmp_eq_u32 s16, 0
	s_cbranch_scc1 .LBB5_556
; %bb.555:                              ;   in Loop: Header=BB5_557 Depth=2
	s_sleep 1
	s_cbranch_execnz .LBB5_557
	s_branch .LBB5_559
.LBB5_556:                              ;   in Loop: Header=BB5_3 Depth=1
	s_branch .LBB5_559
.LBB5_557:                              ;   Parent Loop BB5_3 Depth=1
                                        ; =>  This Inner Loop Header: Depth=2
	v_mov_b32_e32 v2, 1
	s_and_saveexec_b64 s[16:17], s[0:1]
	s_cbranch_execz .LBB5_554
; %bb.558:                              ;   in Loop: Header=BB5_557 Depth=2
	global_load_dword v2, v[0:1], off offset:20 glc
	s_waitcnt vmcnt(0)
	buffer_wbinvl1_vol
	v_and_b32_e32 v2, 1, v2
	s_branch .LBB5_554
.LBB5_559:                              ;   in Loop: Header=BB5_3 Depth=1
	global_load_dwordx2 v[44:45], v[4:5], off
	s_and_saveexec_b64 s[16:17], s[0:1]
	s_cbranch_execz .LBB5_563
; %bb.560:                              ;   in Loop: Header=BB5_3 Depth=1
	global_load_dwordx2 v[0:1], v3, s[2:3] offset:40
	global_load_dwordx2 v[24:25], v3, s[2:3] offset:24 glc
	global_load_dwordx2 v[4:5], v3, s[2:3]
	s_waitcnt vmcnt(2)
	v_readfirstlane_b32 s18, v0
	v_readfirstlane_b32 s19, v1
	s_add_u32 s20, s18, 1
	s_addc_u32 s21, s19, 0
	s_add_u32 s0, s20, s14
	s_addc_u32 s1, s21, s15
	s_cmp_eq_u64 s[0:1], 0
	s_cselect_b32 s1, s21, s1
	s_cselect_b32 s0, s20, s0
	s_and_b64 s[14:15], s[0:1], s[18:19]
	s_mul_i32 s15, s15, 24
	s_mul_hi_u32 s18, s14, 24
	s_mul_i32 s14, s14, 24
	s_add_i32 s15, s18, s15
	v_mov_b32_e32 v1, s15
	s_waitcnt vmcnt(0)
	v_add_co_u32_e32 v0, vcc, s14, v4
	v_addc_co_u32_e32 v1, vcc, v5, v1, vcc
	v_mov_b32_e32 v22, s0
	global_store_dwordx2 v[0:1], v[24:25], off
	v_mov_b32_e32 v23, s1
	s_waitcnt vmcnt(0)
	global_atomic_cmpswap_x2 v[22:23], v3, v[22:25], s[2:3] offset:24 glc
	s_waitcnt vmcnt(0)
	v_cmp_ne_u64_e32 vcc, v[22:23], v[24:25]
	s_and_b64 exec, exec, vcc
	s_cbranch_execz .LBB5_563
; %bb.561:                              ;   in Loop: Header=BB5_3 Depth=1
	s_mov_b64 s[14:15], 0
.LBB5_562:                              ;   Parent Loop BB5_3 Depth=1
                                        ; =>  This Inner Loop Header: Depth=2
	s_sleep 1
	global_store_dwordx2 v[0:1], v[22:23], off
	v_mov_b32_e32 v20, s0
	v_mov_b32_e32 v21, s1
	s_waitcnt vmcnt(0)
	global_atomic_cmpswap_x2 v[4:5], v3, v[20:23], s[2:3] offset:24 glc
	s_waitcnt vmcnt(0)
	v_cmp_eq_u64_e32 vcc, v[4:5], v[22:23]
	v_mov_b32_e32 v23, v5
	s_or_b64 s[14:15], vcc, s[14:15]
	v_mov_b32_e32 v22, v4
	s_andn2_b64 exec, exec, s[14:15]
	s_cbranch_execnz .LBB5_562
.LBB5_563:                              ;   in Loop: Header=BB5_3 Depth=1
	s_or_b64 exec, exec, s[16:17]
	ds_read_b32 v2, v50
	v_readfirstlane_b32 s0, v47
	v_mov_b32_e32 v0, 0
	v_mov_b32_e32 v1, 0
	v_cmp_eq_u32_e64 s[0:1], s0, v47
	s_waitcnt vmcnt(0) lgkmcnt(0)
	v_subrev_u32_e32 v45, s31, v2
	ds_write_b32 v51, v45
	s_and_saveexec_b64 s[14:15], s[0:1]
	s_cbranch_execz .LBB5_569
; %bb.564:                              ;   in Loop: Header=BB5_3 Depth=1
	global_load_dwordx2 v[22:23], v3, s[2:3] offset:24 glc
	s_waitcnt vmcnt(0)
	buffer_wbinvl1_vol
	global_load_dwordx2 v[0:1], v3, s[2:3] offset:40
	global_load_dwordx2 v[4:5], v3, s[2:3]
	s_waitcnt vmcnt(1)
	v_and_b32_e32 v0, v0, v22
	v_and_b32_e32 v1, v1, v23
	v_mul_lo_u32 v1, v1, 24
	v_mul_hi_u32 v2, v0, 24
	v_mul_lo_u32 v0, v0, 24
	v_add_u32_e32 v1, v2, v1
	s_waitcnt vmcnt(0)
	v_add_co_u32_e32 v0, vcc, v4, v0
	v_addc_co_u32_e32 v1, vcc, v5, v1, vcc
	global_load_dwordx2 v[20:21], v[0:1], off glc
	s_waitcnt vmcnt(0)
	global_atomic_cmpswap_x2 v[0:1], v3, v[20:23], s[2:3] offset:24 glc
	s_waitcnt vmcnt(0)
	buffer_wbinvl1_vol
	v_cmp_ne_u64_e32 vcc, v[0:1], v[22:23]
	s_and_saveexec_b64 s[16:17], vcc
	s_cbranch_execz .LBB5_568
; %bb.565:                              ;   in Loop: Header=BB5_3 Depth=1
	s_mov_b64 s[18:19], 0
.LBB5_566:                              ;   Parent Loop BB5_3 Depth=1
                                        ; =>  This Inner Loop Header: Depth=2
	s_sleep 1
	global_load_dwordx2 v[4:5], v3, s[2:3] offset:40
	global_load_dwordx2 v[9:10], v3, s[2:3]
	v_mov_b32_e32 v23, v1
	v_mov_b32_e32 v22, v0
	s_waitcnt vmcnt(1)
	v_and_b32_e32 v0, v4, v22
	s_waitcnt vmcnt(0)
	v_mad_u64_u32 v[0:1], s[20:21], v0, 24, v[9:10]
	v_and_b32_e32 v2, v5, v23
	v_mad_u64_u32 v[1:2], s[20:21], v2, 24, v[1:2]
	global_load_dwordx2 v[20:21], v[0:1], off glc
	s_waitcnt vmcnt(0)
	global_atomic_cmpswap_x2 v[0:1], v3, v[20:23], s[2:3] offset:24 glc
	s_waitcnt vmcnt(0)
	buffer_wbinvl1_vol
	v_cmp_eq_u64_e32 vcc, v[0:1], v[22:23]
	s_or_b64 s[18:19], vcc, s[18:19]
	s_andn2_b64 exec, exec, s[18:19]
	s_cbranch_execnz .LBB5_566
; %bb.567:                              ;   in Loop: Header=BB5_3 Depth=1
	s_or_b64 exec, exec, s[18:19]
.LBB5_568:                              ;   in Loop: Header=BB5_3 Depth=1
	s_or_b64 exec, exec, s[16:17]
.LBB5_569:                              ;   in Loop: Header=BB5_3 Depth=1
	s_or_b64 exec, exec, s[14:15]
	global_load_dwordx2 v[4:5], v3, s[2:3] offset:40
	global_load_dwordx4 v[20:23], v3, s[2:3]
	v_readfirstlane_b32 s15, v1
	v_readfirstlane_b32 s14, v0
	s_mov_b64 s[16:17], exec
	s_waitcnt vmcnt(1)
	v_readfirstlane_b32 s18, v4
	v_readfirstlane_b32 s19, v5
	s_and_b64 s[18:19], s[18:19], s[14:15]
	s_mul_i32 s20, s19, 24
	s_mul_hi_u32 s21, s18, 24
	s_mul_i32 s22, s18, 24
	s_add_i32 s20, s21, s20
	v_mov_b32_e32 v1, s20
	s_waitcnt vmcnt(0)
	v_add_co_u32_e32 v0, vcc, s22, v20
	v_addc_co_u32_e32 v1, vcc, v21, v1, vcc
	s_and_saveexec_b64 s[20:21], s[0:1]
	s_cbranch_execz .LBB5_571
; %bb.570:                              ;   in Loop: Header=BB5_3 Depth=1
	v_mov_b32_e32 v4, s16
	v_mov_b32_e32 v5, s17
	global_store_dwordx4 v[0:1], v[4:7], off offset:8
.LBB5_571:                              ;   in Loop: Header=BB5_3 Depth=1
	s_or_b64 exec, exec, s[20:21]
	s_lshl_b64 s[16:17], s[18:19], 12
	v_mov_b32_e32 v2, s17
	v_add_co_u32_e32 v24, vcc, s16, v22
	v_addc_co_u32_e32 v25, vcc, v23, v2, vcc
	v_mov_b32_e32 v29, s11
	v_mov_b32_e32 v9, v3
	;; [unrolled: 1-line block ×4, first 2 shown]
	v_readfirstlane_b32 s16, v24
	v_readfirstlane_b32 s17, v25
	v_mov_b32_e32 v28, s10
	v_mov_b32_e32 v27, s9
	v_mov_b32_e32 v26, s8
	s_nop 1
	global_store_dwordx4 v53, v[8:11], s[16:17]
	global_store_dwordx4 v53, v[26:29], s[16:17] offset:16
	global_store_dwordx4 v53, v[26:29], s[16:17] offset:32
	global_store_dwordx4 v53, v[26:29], s[16:17] offset:48
	s_and_saveexec_b64 s[16:17], s[0:1]
	s_cbranch_execz .LBB5_579
; %bb.572:                              ;   in Loop: Header=BB5_3 Depth=1
	global_load_dwordx2 v[28:29], v3, s[2:3] offset:32 glc
	global_load_dwordx2 v[4:5], v3, s[2:3] offset:40
	v_mov_b32_e32 v26, s14
	v_mov_b32_e32 v27, s15
	s_waitcnt vmcnt(0)
	v_readfirstlane_b32 s18, v4
	v_readfirstlane_b32 s19, v5
	s_and_b64 s[18:19], s[18:19], s[14:15]
	s_mul_i32 s19, s19, 24
	s_mul_hi_u32 s20, s18, 24
	s_mul_i32 s18, s18, 24
	s_add_i32 s19, s20, s19
	v_mov_b32_e32 v2, s19
	v_add_co_u32_e32 v4, vcc, s18, v20
	v_addc_co_u32_e32 v5, vcc, v21, v2, vcc
	global_store_dwordx2 v[4:5], v[28:29], off
	s_waitcnt vmcnt(0)
	global_atomic_cmpswap_x2 v[22:23], v3, v[26:29], s[2:3] offset:32 glc
	s_waitcnt vmcnt(0)
	v_cmp_ne_u64_e32 vcc, v[22:23], v[28:29]
	s_and_saveexec_b64 s[18:19], vcc
	s_cbranch_execz .LBB5_575
; %bb.573:                              ;   in Loop: Header=BB5_3 Depth=1
	s_mov_b64 s[20:21], 0
.LBB5_574:                              ;   Parent Loop BB5_3 Depth=1
                                        ; =>  This Inner Loop Header: Depth=2
	s_sleep 1
	global_store_dwordx2 v[4:5], v[22:23], off
	v_mov_b32_e32 v20, s14
	v_mov_b32_e32 v21, s15
	s_waitcnt vmcnt(0)
	global_atomic_cmpswap_x2 v[9:10], v3, v[20:23], s[2:3] offset:32 glc
	s_waitcnt vmcnt(0)
	v_cmp_eq_u64_e32 vcc, v[9:10], v[22:23]
	v_mov_b32_e32 v23, v10
	s_or_b64 s[20:21], vcc, s[20:21]
	v_mov_b32_e32 v22, v9
	s_andn2_b64 exec, exec, s[20:21]
	s_cbranch_execnz .LBB5_574
.LBB5_575:                              ;   in Loop: Header=BB5_3 Depth=1
	s_or_b64 exec, exec, s[18:19]
	global_load_dwordx2 v[4:5], v3, s[2:3] offset:16
	s_mov_b64 s[20:21], exec
	v_mbcnt_lo_u32_b32 v2, s20, 0
	v_mbcnt_hi_u32_b32 v2, s21, v2
	v_cmp_eq_u32_e32 vcc, 0, v2
	s_and_saveexec_b64 s[18:19], vcc
	s_cbranch_execz .LBB5_577
; %bb.576:                              ;   in Loop: Header=BB5_3 Depth=1
	s_bcnt1_i32_b64 s20, s[20:21]
	v_mov_b32_e32 v2, s20
	s_waitcnt vmcnt(0)
	global_atomic_add_x2 v[4:5], v[2:3], off offset:8
.LBB5_577:                              ;   in Loop: Header=BB5_3 Depth=1
	s_or_b64 exec, exec, s[18:19]
	s_waitcnt vmcnt(0)
	global_load_dwordx2 v[9:10], v[4:5], off offset:16
	s_waitcnt vmcnt(0)
	v_cmp_eq_u64_e32 vcc, 0, v[9:10]
	s_cbranch_vccnz .LBB5_579
; %bb.578:                              ;   in Loop: Header=BB5_3 Depth=1
	global_load_dword v2, v[4:5], off offset:24
	s_waitcnt vmcnt(0)
	v_readfirstlane_b32 s18, v2
	s_and_b32 m0, s18, 0xffffff
	global_store_dwordx2 v[9:10], v[2:3], off
	s_sendmsg sendmsg(MSG_INTERRUPT)
.LBB5_579:                              ;   in Loop: Header=BB5_3 Depth=1
	s_or_b64 exec, exec, s[16:17]
	v_add_co_u32_e32 v4, vcc, v24, v53
	v_addc_co_u32_e32 v5, vcc, 0, v25, vcc
	s_branch .LBB5_583
.LBB5_580:                              ;   in Loop: Header=BB5_583 Depth=2
	s_or_b64 exec, exec, s[16:17]
	v_readfirstlane_b32 s16, v2
	s_cmp_eq_u32 s16, 0
	s_cbranch_scc1 .LBB5_582
; %bb.581:                              ;   in Loop: Header=BB5_583 Depth=2
	s_sleep 1
	s_cbranch_execnz .LBB5_583
	s_branch .LBB5_585
.LBB5_582:                              ;   in Loop: Header=BB5_3 Depth=1
	s_branch .LBB5_585
.LBB5_583:                              ;   Parent Loop BB5_3 Depth=1
                                        ; =>  This Inner Loop Header: Depth=2
	v_mov_b32_e32 v2, 1
	s_and_saveexec_b64 s[16:17], s[0:1]
	s_cbranch_execz .LBB5_580
; %bb.584:                              ;   in Loop: Header=BB5_583 Depth=2
	global_load_dword v2, v[0:1], off offset:20 glc
	s_waitcnt vmcnt(0)
	buffer_wbinvl1_vol
	v_and_b32_e32 v2, 1, v2
	s_branch .LBB5_580
.LBB5_585:                              ;   in Loop: Header=BB5_3 Depth=1
	global_load_dwordx2 v[0:1], v[4:5], off
	s_and_saveexec_b64 s[16:17], s[0:1]
	s_cbranch_execz .LBB5_589
; %bb.586:                              ;   in Loop: Header=BB5_3 Depth=1
	global_load_dwordx2 v[4:5], v3, s[2:3] offset:40
	global_load_dwordx2 v[24:25], v3, s[2:3] offset:24 glc
	global_load_dwordx2 v[9:10], v3, s[2:3]
	s_waitcnt vmcnt(2)
	v_readfirstlane_b32 s18, v4
	v_readfirstlane_b32 s19, v5
	s_add_u32 s20, s18, 1
	s_addc_u32 s21, s19, 0
	s_add_u32 s0, s20, s14
	s_addc_u32 s1, s21, s15
	s_cmp_eq_u64 s[0:1], 0
	s_cselect_b32 s1, s21, s1
	s_cselect_b32 s0, s20, s0
	s_and_b64 s[14:15], s[0:1], s[18:19]
	s_mul_i32 s15, s15, 24
	s_mul_hi_u32 s18, s14, 24
	s_mul_i32 s14, s14, 24
	s_add_i32 s15, s18, s15
	v_mov_b32_e32 v2, s15
	s_waitcnt vmcnt(0)
	v_add_co_u32_e32 v4, vcc, s14, v9
	v_addc_co_u32_e32 v5, vcc, v10, v2, vcc
	v_mov_b32_e32 v22, s0
	global_store_dwordx2 v[4:5], v[24:25], off
	v_mov_b32_e32 v23, s1
	s_waitcnt vmcnt(0)
	global_atomic_cmpswap_x2 v[22:23], v3, v[22:25], s[2:3] offset:24 glc
	s_waitcnt vmcnt(0)
	v_cmp_ne_u64_e32 vcc, v[22:23], v[24:25]
	s_and_b64 exec, exec, vcc
	s_cbranch_execz .LBB5_589
; %bb.587:                              ;   in Loop: Header=BB5_3 Depth=1
	s_mov_b64 s[14:15], 0
.LBB5_588:                              ;   Parent Loop BB5_3 Depth=1
                                        ; =>  This Inner Loop Header: Depth=2
	s_sleep 1
	global_store_dwordx2 v[4:5], v[22:23], off
	v_mov_b32_e32 v20, s0
	v_mov_b32_e32 v21, s1
	s_waitcnt vmcnt(0)
	global_atomic_cmpswap_x2 v[9:10], v3, v[20:23], s[2:3] offset:24 glc
	s_waitcnt vmcnt(0)
	v_cmp_eq_u64_e32 vcc, v[9:10], v[22:23]
	v_mov_b32_e32 v23, v10
	s_or_b64 s[14:15], vcc, s[14:15]
	v_mov_b32_e32 v22, v9
	s_andn2_b64 exec, exec, s[14:15]
	s_cbranch_execnz .LBB5_588
.LBB5_589:                              ;   in Loop: Header=BB5_3 Depth=1
	s_or_b64 exec, exec, s[16:17]
	s_and_b64 vcc, exec, s[4:5]
	s_cbranch_vccz .LBB5_761
; %bb.590:                              ;   in Loop: Header=BB5_3 Depth=1
	s_waitcnt vmcnt(0)
	v_and_b32_e32 v11, 2, v0
	v_and_b32_e32 v20, -3, v0
	v_mov_b32_e32 v21, v1
	s_mov_b64 s[16:17], 6
	s_getpc_b64 s[14:15]
	s_add_u32 s14, s14, .str.7@rel32@lo+4
	s_addc_u32 s15, s15, .str.7@rel32@hi+12
	s_branch .LBB5_592
.LBB5_591:                              ;   in Loop: Header=BB5_592 Depth=2
	s_or_b64 exec, exec, s[22:23]
	s_sub_u32 s16, s16, s18
	s_subb_u32 s17, s17, s19
	s_add_u32 s14, s14, s18
	s_addc_u32 s15, s15, s19
	s_cmp_lg_u64 s[16:17], 0
	s_cbranch_scc0 .LBB5_674
.LBB5_592:                              ;   Parent Loop BB5_3 Depth=1
                                        ; =>  This Loop Header: Depth=2
                                        ;       Child Loop BB5_595 Depth 3
                                        ;       Child Loop BB5_603 Depth 3
	;; [unrolled: 1-line block ×11, first 2 shown]
	v_cmp_lt_u64_e64 s[0:1], s[16:17], 56
	v_cmp_gt_u64_e64 s[20:21], s[16:17], 7
	s_and_b64 s[0:1], s[0:1], exec
	s_cselect_b32 s19, s17, 0
	s_cselect_b32 s18, s16, 56
	s_add_u32 s0, s14, 8
	s_addc_u32 s1, s15, 0
	s_and_b64 vcc, exec, s[20:21]
	s_cbranch_vccnz .LBB5_596
; %bb.593:                              ;   in Loop: Header=BB5_592 Depth=2
	s_cmp_eq_u64 s[16:17], 0
	s_cbranch_scc1 .LBB5_597
; %bb.594:                              ;   in Loop: Header=BB5_592 Depth=2
	v_mov_b32_e32 v22, 0
	s_lshl_b64 s[0:1], s[18:19], 3
	s_mov_b64 s[20:21], 0
	v_mov_b32_e32 v23, 0
	s_mov_b64 s[22:23], s[14:15]
.LBB5_595:                              ;   Parent Loop BB5_3 Depth=1
                                        ;     Parent Loop BB5_592 Depth=2
                                        ; =>    This Inner Loop Header: Depth=3
	global_load_ubyte v2, v3, s[22:23]
	s_waitcnt vmcnt(0)
	v_and_b32_e32 v2, 0xffff, v2
	v_lshlrev_b64 v[4:5], s20, v[2:3]
	s_add_u32 s20, s20, 8
	s_addc_u32 s21, s21, 0
	s_add_u32 s22, s22, 1
	s_addc_u32 s23, s23, 0
	v_or_b32_e32 v22, v4, v22
	s_cmp_lg_u32 s0, s20
	v_or_b32_e32 v23, v5, v23
	s_cbranch_scc1 .LBB5_595
	s_branch .LBB5_598
.LBB5_596:                              ;   in Loop: Header=BB5_592 Depth=2
	s_mov_b32 s24, 0
	s_branch .LBB5_599
.LBB5_597:                              ;   in Loop: Header=BB5_592 Depth=2
	v_mov_b32_e32 v22, 0
	v_mov_b32_e32 v23, 0
.LBB5_598:                              ;   in Loop: Header=BB5_592 Depth=2
	s_mov_b64 s[0:1], s[14:15]
	s_mov_b32 s24, 0
	s_cbranch_execnz .LBB5_600
.LBB5_599:                              ;   in Loop: Header=BB5_592 Depth=2
	global_load_dwordx2 v[22:23], v3, s[14:15]
	s_add_i32 s24, s18, -8
.LBB5_600:                              ;   in Loop: Header=BB5_592 Depth=2
	s_add_u32 s20, s0, 8
	s_addc_u32 s21, s1, 0
	s_cmp_gt_u32 s24, 7
	s_cbranch_scc1 .LBB5_604
; %bb.601:                              ;   in Loop: Header=BB5_592 Depth=2
	s_cmp_eq_u32 s24, 0
	s_cbranch_scc1 .LBB5_605
; %bb.602:                              ;   in Loop: Header=BB5_592 Depth=2
	v_mov_b32_e32 v24, 0
	s_mov_b64 s[20:21], 0
	v_mov_b32_e32 v25, 0
	s_mov_b64 s[22:23], 0
.LBB5_603:                              ;   Parent Loop BB5_3 Depth=1
                                        ;     Parent Loop BB5_592 Depth=2
                                        ; =>    This Inner Loop Header: Depth=3
	s_add_u32 s26, s0, s22
	s_addc_u32 s27, s1, s23
	global_load_ubyte v2, v3, s[26:27]
	s_add_u32 s22, s22, 1
	s_addc_u32 s23, s23, 0
	s_waitcnt vmcnt(0)
	v_and_b32_e32 v2, 0xffff, v2
	v_lshlrev_b64 v[4:5], s20, v[2:3]
	s_add_u32 s20, s20, 8
	s_addc_u32 s21, s21, 0
	v_or_b32_e32 v24, v4, v24
	s_cmp_lg_u32 s24, s22
	v_or_b32_e32 v25, v5, v25
	s_cbranch_scc1 .LBB5_603
	s_branch .LBB5_606
.LBB5_604:                              ;   in Loop: Header=BB5_592 Depth=2
                                        ; implicit-def: $vgpr24_vgpr25
	s_mov_b32 s25, 0
	s_branch .LBB5_607
.LBB5_605:                              ;   in Loop: Header=BB5_592 Depth=2
	v_mov_b32_e32 v24, 0
	v_mov_b32_e32 v25, 0
.LBB5_606:                              ;   in Loop: Header=BB5_592 Depth=2
	s_mov_b64 s[20:21], s[0:1]
	s_mov_b32 s25, 0
	s_cbranch_execnz .LBB5_608
.LBB5_607:                              ;   in Loop: Header=BB5_592 Depth=2
	global_load_dwordx2 v[24:25], v3, s[0:1]
	s_add_i32 s25, s24, -8
.LBB5_608:                              ;   in Loop: Header=BB5_592 Depth=2
	s_add_u32 s0, s20, 8
	s_addc_u32 s1, s21, 0
	s_cmp_gt_u32 s25, 7
	s_cbranch_scc1 .LBB5_612
; %bb.609:                              ;   in Loop: Header=BB5_592 Depth=2
	s_cmp_eq_u32 s25, 0
	s_cbranch_scc1 .LBB5_613
; %bb.610:                              ;   in Loop: Header=BB5_592 Depth=2
	v_mov_b32_e32 v26, 0
	s_mov_b64 s[0:1], 0
	v_mov_b32_e32 v27, 0
	s_mov_b64 s[22:23], 0
.LBB5_611:                              ;   Parent Loop BB5_3 Depth=1
                                        ;     Parent Loop BB5_592 Depth=2
                                        ; =>    This Inner Loop Header: Depth=3
	s_add_u32 s26, s20, s22
	s_addc_u32 s27, s21, s23
	global_load_ubyte v2, v3, s[26:27]
	s_add_u32 s22, s22, 1
	s_addc_u32 s23, s23, 0
	s_waitcnt vmcnt(0)
	v_and_b32_e32 v2, 0xffff, v2
	v_lshlrev_b64 v[4:5], s0, v[2:3]
	s_add_u32 s0, s0, 8
	s_addc_u32 s1, s1, 0
	v_or_b32_e32 v26, v4, v26
	s_cmp_lg_u32 s25, s22
	v_or_b32_e32 v27, v5, v27
	s_cbranch_scc1 .LBB5_611
	s_branch .LBB5_614
.LBB5_612:                              ;   in Loop: Header=BB5_592 Depth=2
	s_mov_b32 s24, 0
	s_branch .LBB5_615
.LBB5_613:                              ;   in Loop: Header=BB5_592 Depth=2
	v_mov_b32_e32 v26, 0
	v_mov_b32_e32 v27, 0
.LBB5_614:                              ;   in Loop: Header=BB5_592 Depth=2
	s_mov_b64 s[0:1], s[20:21]
	s_mov_b32 s24, 0
	s_cbranch_execnz .LBB5_616
.LBB5_615:                              ;   in Loop: Header=BB5_592 Depth=2
	global_load_dwordx2 v[26:27], v3, s[20:21]
	s_add_i32 s24, s25, -8
.LBB5_616:                              ;   in Loop: Header=BB5_592 Depth=2
	s_add_u32 s20, s0, 8
	s_addc_u32 s21, s1, 0
	s_cmp_gt_u32 s24, 7
	s_cbranch_scc1 .LBB5_620
; %bb.617:                              ;   in Loop: Header=BB5_592 Depth=2
	s_cmp_eq_u32 s24, 0
	s_cbranch_scc1 .LBB5_621
; %bb.618:                              ;   in Loop: Header=BB5_592 Depth=2
	v_mov_b32_e32 v28, 0
	s_mov_b64 s[20:21], 0
	v_mov_b32_e32 v29, 0
	s_mov_b64 s[22:23], 0
.LBB5_619:                              ;   Parent Loop BB5_3 Depth=1
                                        ;     Parent Loop BB5_592 Depth=2
                                        ; =>    This Inner Loop Header: Depth=3
	s_add_u32 s26, s0, s22
	s_addc_u32 s27, s1, s23
	global_load_ubyte v2, v3, s[26:27]
	s_add_u32 s22, s22, 1
	s_addc_u32 s23, s23, 0
	s_waitcnt vmcnt(0)
	v_and_b32_e32 v2, 0xffff, v2
	v_lshlrev_b64 v[4:5], s20, v[2:3]
	s_add_u32 s20, s20, 8
	s_addc_u32 s21, s21, 0
	v_or_b32_e32 v28, v4, v28
	s_cmp_lg_u32 s24, s22
	v_or_b32_e32 v29, v5, v29
	s_cbranch_scc1 .LBB5_619
	s_branch .LBB5_622
.LBB5_620:                              ;   in Loop: Header=BB5_592 Depth=2
                                        ; implicit-def: $vgpr28_vgpr29
	s_mov_b32 s25, 0
	s_branch .LBB5_623
.LBB5_621:                              ;   in Loop: Header=BB5_592 Depth=2
	v_mov_b32_e32 v28, 0
	v_mov_b32_e32 v29, 0
.LBB5_622:                              ;   in Loop: Header=BB5_592 Depth=2
	s_mov_b64 s[20:21], s[0:1]
	s_mov_b32 s25, 0
	s_cbranch_execnz .LBB5_624
.LBB5_623:                              ;   in Loop: Header=BB5_592 Depth=2
	global_load_dwordx2 v[28:29], v3, s[0:1]
	s_add_i32 s25, s24, -8
.LBB5_624:                              ;   in Loop: Header=BB5_592 Depth=2
	s_add_u32 s0, s20, 8
	s_addc_u32 s1, s21, 0
	s_cmp_gt_u32 s25, 7
	s_cbranch_scc1 .LBB5_628
; %bb.625:                              ;   in Loop: Header=BB5_592 Depth=2
	s_cmp_eq_u32 s25, 0
	s_cbranch_scc1 .LBB5_629
; %bb.626:                              ;   in Loop: Header=BB5_592 Depth=2
	v_mov_b32_e32 v30, 0
	s_mov_b64 s[0:1], 0
	v_mov_b32_e32 v31, 0
	s_mov_b64 s[22:23], 0
.LBB5_627:                              ;   Parent Loop BB5_3 Depth=1
                                        ;     Parent Loop BB5_592 Depth=2
                                        ; =>    This Inner Loop Header: Depth=3
	s_add_u32 s26, s20, s22
	s_addc_u32 s27, s21, s23
	global_load_ubyte v2, v3, s[26:27]
	s_add_u32 s22, s22, 1
	s_addc_u32 s23, s23, 0
	s_waitcnt vmcnt(0)
	v_and_b32_e32 v2, 0xffff, v2
	v_lshlrev_b64 v[4:5], s0, v[2:3]
	s_add_u32 s0, s0, 8
	s_addc_u32 s1, s1, 0
	v_or_b32_e32 v30, v4, v30
	s_cmp_lg_u32 s25, s22
	v_or_b32_e32 v31, v5, v31
	s_cbranch_scc1 .LBB5_627
	s_branch .LBB5_630
.LBB5_628:                              ;   in Loop: Header=BB5_592 Depth=2
	s_mov_b32 s24, 0
	s_branch .LBB5_631
.LBB5_629:                              ;   in Loop: Header=BB5_592 Depth=2
	v_mov_b32_e32 v30, 0
	v_mov_b32_e32 v31, 0
.LBB5_630:                              ;   in Loop: Header=BB5_592 Depth=2
	s_mov_b64 s[0:1], s[20:21]
	s_mov_b32 s24, 0
	s_cbranch_execnz .LBB5_632
.LBB5_631:                              ;   in Loop: Header=BB5_592 Depth=2
	global_load_dwordx2 v[30:31], v3, s[20:21]
	s_add_i32 s24, s25, -8
.LBB5_632:                              ;   in Loop: Header=BB5_592 Depth=2
	s_add_u32 s20, s0, 8
	s_addc_u32 s21, s1, 0
	s_cmp_gt_u32 s24, 7
	s_cbranch_scc1 .LBB5_636
; %bb.633:                              ;   in Loop: Header=BB5_592 Depth=2
	s_cmp_eq_u32 s24, 0
	s_cbranch_scc1 .LBB5_637
; %bb.634:                              ;   in Loop: Header=BB5_592 Depth=2
	v_mov_b32_e32 v32, 0
	s_mov_b64 s[20:21], 0
	v_mov_b32_e32 v33, 0
	s_mov_b64 s[22:23], 0
.LBB5_635:                              ;   Parent Loop BB5_3 Depth=1
                                        ;     Parent Loop BB5_592 Depth=2
                                        ; =>    This Inner Loop Header: Depth=3
	s_add_u32 s26, s0, s22
	s_addc_u32 s27, s1, s23
	global_load_ubyte v2, v3, s[26:27]
	s_add_u32 s22, s22, 1
	s_addc_u32 s23, s23, 0
	s_waitcnt vmcnt(0)
	v_and_b32_e32 v2, 0xffff, v2
	v_lshlrev_b64 v[4:5], s20, v[2:3]
	s_add_u32 s20, s20, 8
	s_addc_u32 s21, s21, 0
	v_or_b32_e32 v32, v4, v32
	s_cmp_lg_u32 s24, s22
	v_or_b32_e32 v33, v5, v33
	s_cbranch_scc1 .LBB5_635
	s_branch .LBB5_638
.LBB5_636:                              ;   in Loop: Header=BB5_592 Depth=2
                                        ; implicit-def: $vgpr32_vgpr33
	s_mov_b32 s25, 0
	s_branch .LBB5_639
.LBB5_637:                              ;   in Loop: Header=BB5_592 Depth=2
	v_mov_b32_e32 v32, 0
	v_mov_b32_e32 v33, 0
.LBB5_638:                              ;   in Loop: Header=BB5_592 Depth=2
	s_mov_b64 s[20:21], s[0:1]
	s_mov_b32 s25, 0
	s_cbranch_execnz .LBB5_640
.LBB5_639:                              ;   in Loop: Header=BB5_592 Depth=2
	global_load_dwordx2 v[32:33], v3, s[0:1]
	s_add_i32 s25, s24, -8
.LBB5_640:                              ;   in Loop: Header=BB5_592 Depth=2
	s_cmp_gt_u32 s25, 7
	s_cbranch_scc1 .LBB5_644
; %bb.641:                              ;   in Loop: Header=BB5_592 Depth=2
	s_cmp_eq_u32 s25, 0
	s_cbranch_scc1 .LBB5_645
; %bb.642:                              ;   in Loop: Header=BB5_592 Depth=2
	v_mov_b32_e32 v34, 0
	s_mov_b64 s[0:1], 0
	v_mov_b32_e32 v35, 0
	s_mov_b64 s[22:23], s[20:21]
.LBB5_643:                              ;   Parent Loop BB5_3 Depth=1
                                        ;     Parent Loop BB5_592 Depth=2
                                        ; =>    This Inner Loop Header: Depth=3
	global_load_ubyte v2, v3, s[22:23]
	s_add_i32 s25, s25, -1
	s_waitcnt vmcnt(0)
	v_and_b32_e32 v2, 0xffff, v2
	v_lshlrev_b64 v[4:5], s0, v[2:3]
	s_add_u32 s0, s0, 8
	s_addc_u32 s1, s1, 0
	s_add_u32 s22, s22, 1
	s_addc_u32 s23, s23, 0
	v_or_b32_e32 v34, v4, v34
	s_cmp_lg_u32 s25, 0
	v_or_b32_e32 v35, v5, v35
	s_cbranch_scc1 .LBB5_643
	s_branch .LBB5_646
.LBB5_644:                              ;   in Loop: Header=BB5_592 Depth=2
	s_branch .LBB5_647
.LBB5_645:                              ;   in Loop: Header=BB5_592 Depth=2
	v_mov_b32_e32 v34, 0
	v_mov_b32_e32 v35, 0
.LBB5_646:                              ;   in Loop: Header=BB5_592 Depth=2
	s_cbranch_execnz .LBB5_648
.LBB5_647:                              ;   in Loop: Header=BB5_592 Depth=2
	global_load_dwordx2 v[34:35], v3, s[20:21]
.LBB5_648:                              ;   in Loop: Header=BB5_592 Depth=2
	v_readfirstlane_b32 s0, v47
	v_mov_b32_e32 v4, 0
	v_mov_b32_e32 v5, 0
	v_cmp_eq_u32_e64 s[0:1], s0, v47
	s_and_saveexec_b64 s[20:21], s[0:1]
	s_cbranch_execz .LBB5_654
; %bb.649:                              ;   in Loop: Header=BB5_592 Depth=2
	global_load_dwordx2 v[38:39], v3, s[2:3] offset:24 glc
	s_waitcnt vmcnt(0)
	buffer_wbinvl1_vol
	global_load_dwordx2 v[4:5], v3, s[2:3] offset:40
	global_load_dwordx2 v[9:10], v3, s[2:3]
	s_waitcnt vmcnt(1)
	v_and_b32_e32 v2, v4, v38
	v_and_b32_e32 v4, v5, v39
	v_mul_lo_u32 v4, v4, 24
	v_mul_hi_u32 v5, v2, 24
	v_mul_lo_u32 v2, v2, 24
	v_add_u32_e32 v5, v5, v4
	s_waitcnt vmcnt(0)
	v_add_co_u32_e32 v4, vcc, v9, v2
	v_addc_co_u32_e32 v5, vcc, v10, v5, vcc
	global_load_dwordx2 v[36:37], v[4:5], off glc
	s_waitcnt vmcnt(0)
	global_atomic_cmpswap_x2 v[4:5], v3, v[36:39], s[2:3] offset:24 glc
	s_waitcnt vmcnt(0)
	buffer_wbinvl1_vol
	v_cmp_ne_u64_e32 vcc, v[4:5], v[38:39]
	s_and_saveexec_b64 s[22:23], vcc
	s_cbranch_execz .LBB5_653
; %bb.650:                              ;   in Loop: Header=BB5_592 Depth=2
	s_mov_b64 s[24:25], 0
.LBB5_651:                              ;   Parent Loop BB5_3 Depth=1
                                        ;     Parent Loop BB5_592 Depth=2
                                        ; =>    This Inner Loop Header: Depth=3
	s_sleep 1
	global_load_dwordx2 v[9:10], v3, s[2:3] offset:40
	global_load_dwordx2 v[36:37], v3, s[2:3]
	v_mov_b32_e32 v39, v5
	v_mov_b32_e32 v38, v4
	s_waitcnt vmcnt(1)
	v_and_b32_e32 v2, v9, v38
	s_waitcnt vmcnt(0)
	v_mad_u64_u32 v[4:5], s[26:27], v2, 24, v[36:37]
	v_and_b32_e32 v9, v10, v39
	v_mov_b32_e32 v2, v5
	v_mad_u64_u32 v[9:10], s[26:27], v9, 24, v[2:3]
	v_mov_b32_e32 v5, v9
	global_load_dwordx2 v[36:37], v[4:5], off glc
	s_waitcnt vmcnt(0)
	global_atomic_cmpswap_x2 v[4:5], v3, v[36:39], s[2:3] offset:24 glc
	s_waitcnt vmcnt(0)
	buffer_wbinvl1_vol
	v_cmp_eq_u64_e32 vcc, v[4:5], v[38:39]
	s_or_b64 s[24:25], vcc, s[24:25]
	s_andn2_b64 exec, exec, s[24:25]
	s_cbranch_execnz .LBB5_651
; %bb.652:                              ;   in Loop: Header=BB5_592 Depth=2
	s_or_b64 exec, exec, s[24:25]
.LBB5_653:                              ;   in Loop: Header=BB5_592 Depth=2
	s_or_b64 exec, exec, s[22:23]
.LBB5_654:                              ;   in Loop: Header=BB5_592 Depth=2
	s_or_b64 exec, exec, s[20:21]
	global_load_dwordx2 v[9:10], v3, s[2:3] offset:40
	global_load_dwordx4 v[36:39], v3, s[2:3]
	v_readfirstlane_b32 s21, v5
	v_readfirstlane_b32 s20, v4
	s_mov_b64 s[22:23], exec
	s_waitcnt vmcnt(1)
	v_readfirstlane_b32 s24, v9
	v_readfirstlane_b32 s25, v10
	s_and_b64 s[24:25], s[24:25], s[20:21]
	s_mul_i32 s26, s25, 24
	s_mul_hi_u32 s27, s24, 24
	s_mul_i32 s33, s24, 24
	s_add_i32 s26, s27, s26
	v_mov_b32_e32 v2, s26
	s_waitcnt vmcnt(0)
	v_add_co_u32_e32 v9, vcc, s33, v36
	v_addc_co_u32_e32 v10, vcc, v37, v2, vcc
	s_and_saveexec_b64 s[26:27], s[0:1]
	s_cbranch_execz .LBB5_656
; %bb.655:                              ;   in Loop: Header=BB5_592 Depth=2
	v_mov_b32_e32 v4, s22
	v_mov_b32_e32 v5, s23
	global_store_dwordx4 v[9:10], v[4:7], off offset:8
.LBB5_656:                              ;   in Loop: Header=BB5_592 Depth=2
	s_or_b64 exec, exec, s[26:27]
	s_lshl_b64 s[22:23], s[24:25], 12
	v_mov_b32_e32 v2, s23
	v_add_co_u32_e32 v38, vcc, s22, v38
	v_addc_co_u32_e32 v39, vcc, v39, v2, vcc
	v_cmp_lt_u64_e64 vcc, s[16:17], 57
	s_lshl_b32 s22, s18, 2
	v_cndmask_b32_e32 v2, 0, v11, vcc
	s_add_i32 s22, s22, 28
	v_and_b32_e32 v4, 0xffffff1f, v20
	s_and_b32 s22, s22, 0x1e0
	v_or_b32_e32 v2, v4, v2
	v_or_b32_e32 v20, s22, v2
	v_readfirstlane_b32 s22, v38
	v_readfirstlane_b32 s23, v39
	s_nop 4
	global_store_dwordx4 v53, v[20:23], s[22:23]
	global_store_dwordx4 v53, v[24:27], s[22:23] offset:16
	global_store_dwordx4 v53, v[28:31], s[22:23] offset:32
	;; [unrolled: 1-line block ×3, first 2 shown]
	s_and_saveexec_b64 s[22:23], s[0:1]
	s_cbranch_execz .LBB5_664
; %bb.657:                              ;   in Loop: Header=BB5_592 Depth=2
	global_load_dwordx2 v[24:25], v3, s[2:3] offset:32 glc
	global_load_dwordx2 v[4:5], v3, s[2:3] offset:40
	v_mov_b32_e32 v22, s20
	v_mov_b32_e32 v23, s21
	s_waitcnt vmcnt(0)
	v_readfirstlane_b32 s24, v4
	v_readfirstlane_b32 s25, v5
	s_and_b64 s[24:25], s[24:25], s[20:21]
	s_mul_i32 s25, s25, 24
	s_mul_hi_u32 s26, s24, 24
	s_mul_i32 s24, s24, 24
	s_add_i32 s25, s26, s25
	v_mov_b32_e32 v2, s25
	v_add_co_u32_e32 v4, vcc, s24, v36
	v_addc_co_u32_e32 v5, vcc, v37, v2, vcc
	global_store_dwordx2 v[4:5], v[24:25], off
	s_waitcnt vmcnt(0)
	global_atomic_cmpswap_x2 v[22:23], v3, v[22:25], s[2:3] offset:32 glc
	s_waitcnt vmcnt(0)
	v_cmp_ne_u64_e32 vcc, v[22:23], v[24:25]
	s_and_saveexec_b64 s[24:25], vcc
	s_cbranch_execz .LBB5_660
; %bb.658:                              ;   in Loop: Header=BB5_592 Depth=2
	s_mov_b64 s[26:27], 0
.LBB5_659:                              ;   Parent Loop BB5_3 Depth=1
                                        ;     Parent Loop BB5_592 Depth=2
                                        ; =>    This Inner Loop Header: Depth=3
	s_sleep 1
	global_store_dwordx2 v[4:5], v[22:23], off
	v_mov_b32_e32 v20, s20
	v_mov_b32_e32 v21, s21
	s_waitcnt vmcnt(0)
	global_atomic_cmpswap_x2 v[20:21], v3, v[20:23], s[2:3] offset:32 glc
	s_waitcnt vmcnt(0)
	v_cmp_eq_u64_e32 vcc, v[20:21], v[22:23]
	v_mov_b32_e32 v23, v21
	s_or_b64 s[26:27], vcc, s[26:27]
	v_mov_b32_e32 v22, v20
	s_andn2_b64 exec, exec, s[26:27]
	s_cbranch_execnz .LBB5_659
.LBB5_660:                              ;   in Loop: Header=BB5_592 Depth=2
	s_or_b64 exec, exec, s[24:25]
	global_load_dwordx2 v[4:5], v3, s[2:3] offset:16
	s_mov_b64 s[26:27], exec
	v_mbcnt_lo_u32_b32 v2, s26, 0
	v_mbcnt_hi_u32_b32 v2, s27, v2
	v_cmp_eq_u32_e32 vcc, 0, v2
	s_and_saveexec_b64 s[24:25], vcc
	s_cbranch_execz .LBB5_662
; %bb.661:                              ;   in Loop: Header=BB5_592 Depth=2
	s_bcnt1_i32_b64 s26, s[26:27]
	v_mov_b32_e32 v2, s26
	s_waitcnt vmcnt(0)
	global_atomic_add_x2 v[4:5], v[2:3], off offset:8
.LBB5_662:                              ;   in Loop: Header=BB5_592 Depth=2
	s_or_b64 exec, exec, s[24:25]
	s_waitcnt vmcnt(0)
	global_load_dwordx2 v[20:21], v[4:5], off offset:16
	s_waitcnt vmcnt(0)
	v_cmp_eq_u64_e32 vcc, 0, v[20:21]
	s_cbranch_vccnz .LBB5_664
; %bb.663:                              ;   in Loop: Header=BB5_592 Depth=2
	global_load_dword v2, v[4:5], off offset:24
	s_waitcnt vmcnt(0)
	v_readfirstlane_b32 s24, v2
	s_and_b32 m0, s24, 0xffffff
	global_store_dwordx2 v[20:21], v[2:3], off
	s_sendmsg sendmsg(MSG_INTERRUPT)
.LBB5_664:                              ;   in Loop: Header=BB5_592 Depth=2
	s_or_b64 exec, exec, s[22:23]
	v_add_co_u32_e32 v4, vcc, v38, v53
	v_addc_co_u32_e32 v5, vcc, 0, v39, vcc
	s_branch .LBB5_668
.LBB5_665:                              ;   in Loop: Header=BB5_668 Depth=3
	s_or_b64 exec, exec, s[22:23]
	v_readfirstlane_b32 s22, v2
	s_cmp_eq_u32 s22, 0
	s_cbranch_scc1 .LBB5_667
; %bb.666:                              ;   in Loop: Header=BB5_668 Depth=3
	s_sleep 1
	s_cbranch_execnz .LBB5_668
	s_branch .LBB5_670
.LBB5_667:                              ;   in Loop: Header=BB5_592 Depth=2
	s_branch .LBB5_670
.LBB5_668:                              ;   Parent Loop BB5_3 Depth=1
                                        ;     Parent Loop BB5_592 Depth=2
                                        ; =>    This Inner Loop Header: Depth=3
	v_mov_b32_e32 v2, 1
	s_and_saveexec_b64 s[22:23], s[0:1]
	s_cbranch_execz .LBB5_665
; %bb.669:                              ;   in Loop: Header=BB5_668 Depth=3
	global_load_dword v2, v[9:10], off offset:20 glc
	s_waitcnt vmcnt(0)
	buffer_wbinvl1_vol
	v_and_b32_e32 v2, 1, v2
	s_branch .LBB5_665
.LBB5_670:                              ;   in Loop: Header=BB5_592 Depth=2
	global_load_dwordx2 v[20:21], v[4:5], off
	s_and_saveexec_b64 s[22:23], s[0:1]
	s_cbranch_execz .LBB5_591
; %bb.671:                              ;   in Loop: Header=BB5_592 Depth=2
	global_load_dwordx2 v[4:5], v3, s[2:3] offset:40
	global_load_dwordx2 v[26:27], v3, s[2:3] offset:24 glc
	global_load_dwordx2 v[9:10], v3, s[2:3]
	s_waitcnt vmcnt(2)
	v_readfirstlane_b32 s24, v4
	v_readfirstlane_b32 s25, v5
	s_add_u32 s26, s24, 1
	s_addc_u32 s27, s25, 0
	s_add_u32 s0, s26, s20
	s_addc_u32 s1, s27, s21
	s_cmp_eq_u64 s[0:1], 0
	s_cselect_b32 s1, s27, s1
	s_cselect_b32 s0, s26, s0
	s_and_b64 s[20:21], s[0:1], s[24:25]
	s_mul_i32 s21, s21, 24
	s_mul_hi_u32 s24, s20, 24
	s_mul_i32 s20, s20, 24
	s_add_i32 s21, s24, s21
	v_mov_b32_e32 v2, s21
	s_waitcnt vmcnt(0)
	v_add_co_u32_e32 v4, vcc, s20, v9
	v_addc_co_u32_e32 v5, vcc, v10, v2, vcc
	v_mov_b32_e32 v24, s0
	global_store_dwordx2 v[4:5], v[26:27], off
	v_mov_b32_e32 v25, s1
	s_waitcnt vmcnt(0)
	global_atomic_cmpswap_x2 v[24:25], v3, v[24:27], s[2:3] offset:24 glc
	s_waitcnt vmcnt(0)
	v_cmp_ne_u64_e32 vcc, v[24:25], v[26:27]
	s_and_b64 exec, exec, vcc
	s_cbranch_execz .LBB5_591
; %bb.672:                              ;   in Loop: Header=BB5_592 Depth=2
	s_mov_b64 s[20:21], 0
.LBB5_673:                              ;   Parent Loop BB5_3 Depth=1
                                        ;     Parent Loop BB5_592 Depth=2
                                        ; =>    This Inner Loop Header: Depth=3
	s_sleep 1
	global_store_dwordx2 v[4:5], v[24:25], off
	v_mov_b32_e32 v22, s0
	v_mov_b32_e32 v23, s1
	s_waitcnt vmcnt(0)
	global_atomic_cmpswap_x2 v[9:10], v3, v[22:25], s[2:3] offset:24 glc
	s_waitcnt vmcnt(0)
	v_cmp_eq_u64_e32 vcc, v[9:10], v[24:25]
	v_mov_b32_e32 v25, v10
	s_or_b64 s[20:21], vcc, s[20:21]
	v_mov_b32_e32 v24, v9
	s_andn2_b64 exec, exec, s[20:21]
	s_cbranch_execnz .LBB5_673
	s_branch .LBB5_591
.LBB5_674:                              ;   in Loop: Header=BB5_3 Depth=1
.LBB5_675:                              ;   in Loop: Header=BB5_3 Depth=1
	s_and_b64 vcc, exec, s[12:13]
	s_cbranch_vccz .LBB5_789
.LBB5_676:                              ;   in Loop: Header=BB5_3 Depth=1
	s_waitcnt vmcnt(0)
	v_and_b32_e32 v11, 2, v20
	v_and_b32_e32 v22, -3, v20
	v_mov_b32_e32 v23, v21
	s_mov_b64 s[16:17], 45
	s_getpc_b64 s[14:15]
	s_add_u32 s14, s14, .str.6@rel32@lo+4
	s_addc_u32 s15, s15, .str.6@rel32@hi+12
	s_branch .LBB5_678
.LBB5_677:                              ;   in Loop: Header=BB5_678 Depth=2
	s_or_b64 exec, exec, s[22:23]
	s_sub_u32 s16, s16, s18
	s_subb_u32 s17, s17, s19
	s_add_u32 s14, s14, s18
	s_addc_u32 s15, s15, s19
	s_cmp_lg_u64 s[16:17], 0
	s_cbranch_scc0 .LBB5_760
.LBB5_678:                              ;   Parent Loop BB5_3 Depth=1
                                        ; =>  This Loop Header: Depth=2
                                        ;       Child Loop BB5_681 Depth 3
                                        ;       Child Loop BB5_689 Depth 3
	;; [unrolled: 1-line block ×11, first 2 shown]
	v_cmp_lt_u64_e64 s[0:1], s[16:17], 56
	v_cmp_gt_u64_e64 s[20:21], s[16:17], 7
	s_and_b64 s[0:1], s[0:1], exec
	s_cselect_b32 s19, s17, 0
	s_cselect_b32 s18, s16, 56
	s_add_u32 s0, s14, 8
	s_addc_u32 s1, s15, 0
	s_and_b64 vcc, exec, s[20:21]
	s_cbranch_vccnz .LBB5_682
; %bb.679:                              ;   in Loop: Header=BB5_678 Depth=2
	s_cmp_eq_u64 s[16:17], 0
	s_cbranch_scc1 .LBB5_683
; %bb.680:                              ;   in Loop: Header=BB5_678 Depth=2
	v_mov_b32_e32 v24, 0
	s_lshl_b64 s[0:1], s[18:19], 3
	s_mov_b64 s[20:21], 0
	v_mov_b32_e32 v25, 0
	s_mov_b64 s[22:23], s[14:15]
.LBB5_681:                              ;   Parent Loop BB5_3 Depth=1
                                        ;     Parent Loop BB5_678 Depth=2
                                        ; =>    This Inner Loop Header: Depth=3
	global_load_ubyte v0, v3, s[22:23]
	s_waitcnt vmcnt(0)
	v_and_b32_e32 v2, 0xffff, v0
	v_lshlrev_b64 v[0:1], s20, v[2:3]
	s_add_u32 s20, s20, 8
	s_addc_u32 s21, s21, 0
	s_add_u32 s22, s22, 1
	s_addc_u32 s23, s23, 0
	v_or_b32_e32 v24, v0, v24
	s_cmp_lg_u32 s0, s20
	v_or_b32_e32 v25, v1, v25
	s_cbranch_scc1 .LBB5_681
	s_branch .LBB5_684
.LBB5_682:                              ;   in Loop: Header=BB5_678 Depth=2
	s_mov_b32 s24, 0
	s_branch .LBB5_685
.LBB5_683:                              ;   in Loop: Header=BB5_678 Depth=2
	v_mov_b32_e32 v24, 0
	v_mov_b32_e32 v25, 0
.LBB5_684:                              ;   in Loop: Header=BB5_678 Depth=2
	s_mov_b64 s[0:1], s[14:15]
	s_mov_b32 s24, 0
	s_cbranch_execnz .LBB5_686
.LBB5_685:                              ;   in Loop: Header=BB5_678 Depth=2
	global_load_dwordx2 v[24:25], v3, s[14:15]
	s_add_i32 s24, s18, -8
.LBB5_686:                              ;   in Loop: Header=BB5_678 Depth=2
	s_add_u32 s20, s0, 8
	s_addc_u32 s21, s1, 0
	s_cmp_gt_u32 s24, 7
	s_cbranch_scc1 .LBB5_690
; %bb.687:                              ;   in Loop: Header=BB5_678 Depth=2
	s_cmp_eq_u32 s24, 0
	s_cbranch_scc1 .LBB5_691
; %bb.688:                              ;   in Loop: Header=BB5_678 Depth=2
	v_mov_b32_e32 v26, 0
	s_mov_b64 s[20:21], 0
	v_mov_b32_e32 v27, 0
	s_mov_b64 s[22:23], 0
.LBB5_689:                              ;   Parent Loop BB5_3 Depth=1
                                        ;     Parent Loop BB5_678 Depth=2
                                        ; =>    This Inner Loop Header: Depth=3
	s_add_u32 s26, s0, s22
	s_addc_u32 s27, s1, s23
	global_load_ubyte v0, v3, s[26:27]
	s_add_u32 s22, s22, 1
	s_addc_u32 s23, s23, 0
	s_waitcnt vmcnt(0)
	v_and_b32_e32 v2, 0xffff, v0
	v_lshlrev_b64 v[0:1], s20, v[2:3]
	s_add_u32 s20, s20, 8
	s_addc_u32 s21, s21, 0
	v_or_b32_e32 v26, v0, v26
	s_cmp_lg_u32 s24, s22
	v_or_b32_e32 v27, v1, v27
	s_cbranch_scc1 .LBB5_689
	s_branch .LBB5_692
.LBB5_690:                              ;   in Loop: Header=BB5_678 Depth=2
                                        ; implicit-def: $vgpr26_vgpr27
	s_mov_b32 s25, 0
	s_branch .LBB5_693
.LBB5_691:                              ;   in Loop: Header=BB5_678 Depth=2
	v_mov_b32_e32 v26, 0
	v_mov_b32_e32 v27, 0
.LBB5_692:                              ;   in Loop: Header=BB5_678 Depth=2
	s_mov_b64 s[20:21], s[0:1]
	s_mov_b32 s25, 0
	s_cbranch_execnz .LBB5_694
.LBB5_693:                              ;   in Loop: Header=BB5_678 Depth=2
	global_load_dwordx2 v[26:27], v3, s[0:1]
	s_add_i32 s25, s24, -8
.LBB5_694:                              ;   in Loop: Header=BB5_678 Depth=2
	s_add_u32 s0, s20, 8
	s_addc_u32 s1, s21, 0
	s_cmp_gt_u32 s25, 7
	s_cbranch_scc1 .LBB5_698
; %bb.695:                              ;   in Loop: Header=BB5_678 Depth=2
	s_cmp_eq_u32 s25, 0
	s_cbranch_scc1 .LBB5_699
; %bb.696:                              ;   in Loop: Header=BB5_678 Depth=2
	v_mov_b32_e32 v28, 0
	s_mov_b64 s[0:1], 0
	v_mov_b32_e32 v29, 0
	s_mov_b64 s[22:23], 0
.LBB5_697:                              ;   Parent Loop BB5_3 Depth=1
                                        ;     Parent Loop BB5_678 Depth=2
                                        ; =>    This Inner Loop Header: Depth=3
	s_add_u32 s26, s20, s22
	s_addc_u32 s27, s21, s23
	global_load_ubyte v0, v3, s[26:27]
	s_add_u32 s22, s22, 1
	s_addc_u32 s23, s23, 0
	s_waitcnt vmcnt(0)
	v_and_b32_e32 v2, 0xffff, v0
	v_lshlrev_b64 v[0:1], s0, v[2:3]
	s_add_u32 s0, s0, 8
	s_addc_u32 s1, s1, 0
	v_or_b32_e32 v28, v0, v28
	s_cmp_lg_u32 s25, s22
	v_or_b32_e32 v29, v1, v29
	s_cbranch_scc1 .LBB5_697
	s_branch .LBB5_700
.LBB5_698:                              ;   in Loop: Header=BB5_678 Depth=2
	s_mov_b32 s24, 0
	s_branch .LBB5_701
.LBB5_699:                              ;   in Loop: Header=BB5_678 Depth=2
	v_mov_b32_e32 v28, 0
	v_mov_b32_e32 v29, 0
.LBB5_700:                              ;   in Loop: Header=BB5_678 Depth=2
	s_mov_b64 s[0:1], s[20:21]
	s_mov_b32 s24, 0
	s_cbranch_execnz .LBB5_702
.LBB5_701:                              ;   in Loop: Header=BB5_678 Depth=2
	global_load_dwordx2 v[28:29], v3, s[20:21]
	s_add_i32 s24, s25, -8
.LBB5_702:                              ;   in Loop: Header=BB5_678 Depth=2
	s_add_u32 s20, s0, 8
	s_addc_u32 s21, s1, 0
	s_cmp_gt_u32 s24, 7
	s_cbranch_scc1 .LBB5_706
; %bb.703:                              ;   in Loop: Header=BB5_678 Depth=2
	s_cmp_eq_u32 s24, 0
	s_cbranch_scc1 .LBB5_707
; %bb.704:                              ;   in Loop: Header=BB5_678 Depth=2
	v_mov_b32_e32 v30, 0
	s_mov_b64 s[20:21], 0
	v_mov_b32_e32 v31, 0
	s_mov_b64 s[22:23], 0
.LBB5_705:                              ;   Parent Loop BB5_3 Depth=1
                                        ;     Parent Loop BB5_678 Depth=2
                                        ; =>    This Inner Loop Header: Depth=3
	s_add_u32 s26, s0, s22
	s_addc_u32 s27, s1, s23
	global_load_ubyte v0, v3, s[26:27]
	s_add_u32 s22, s22, 1
	s_addc_u32 s23, s23, 0
	s_waitcnt vmcnt(0)
	v_and_b32_e32 v2, 0xffff, v0
	v_lshlrev_b64 v[0:1], s20, v[2:3]
	s_add_u32 s20, s20, 8
	s_addc_u32 s21, s21, 0
	v_or_b32_e32 v30, v0, v30
	s_cmp_lg_u32 s24, s22
	v_or_b32_e32 v31, v1, v31
	s_cbranch_scc1 .LBB5_705
	s_branch .LBB5_708
.LBB5_706:                              ;   in Loop: Header=BB5_678 Depth=2
                                        ; implicit-def: $vgpr30_vgpr31
	s_mov_b32 s25, 0
	s_branch .LBB5_709
.LBB5_707:                              ;   in Loop: Header=BB5_678 Depth=2
	v_mov_b32_e32 v30, 0
	v_mov_b32_e32 v31, 0
.LBB5_708:                              ;   in Loop: Header=BB5_678 Depth=2
	s_mov_b64 s[20:21], s[0:1]
	s_mov_b32 s25, 0
	s_cbranch_execnz .LBB5_710
.LBB5_709:                              ;   in Loop: Header=BB5_678 Depth=2
	global_load_dwordx2 v[30:31], v3, s[0:1]
	s_add_i32 s25, s24, -8
.LBB5_710:                              ;   in Loop: Header=BB5_678 Depth=2
	s_add_u32 s0, s20, 8
	s_addc_u32 s1, s21, 0
	s_cmp_gt_u32 s25, 7
	s_cbranch_scc1 .LBB5_714
; %bb.711:                              ;   in Loop: Header=BB5_678 Depth=2
	s_cmp_eq_u32 s25, 0
	s_cbranch_scc1 .LBB5_715
; %bb.712:                              ;   in Loop: Header=BB5_678 Depth=2
	v_mov_b32_e32 v32, 0
	s_mov_b64 s[0:1], 0
	v_mov_b32_e32 v33, 0
	s_mov_b64 s[22:23], 0
.LBB5_713:                              ;   Parent Loop BB5_3 Depth=1
                                        ;     Parent Loop BB5_678 Depth=2
                                        ; =>    This Inner Loop Header: Depth=3
	s_add_u32 s26, s20, s22
	s_addc_u32 s27, s21, s23
	global_load_ubyte v0, v3, s[26:27]
	s_add_u32 s22, s22, 1
	s_addc_u32 s23, s23, 0
	s_waitcnt vmcnt(0)
	v_and_b32_e32 v2, 0xffff, v0
	v_lshlrev_b64 v[0:1], s0, v[2:3]
	s_add_u32 s0, s0, 8
	s_addc_u32 s1, s1, 0
	v_or_b32_e32 v32, v0, v32
	s_cmp_lg_u32 s25, s22
	v_or_b32_e32 v33, v1, v33
	s_cbranch_scc1 .LBB5_713
	s_branch .LBB5_716
.LBB5_714:                              ;   in Loop: Header=BB5_678 Depth=2
	s_mov_b32 s24, 0
	s_branch .LBB5_717
.LBB5_715:                              ;   in Loop: Header=BB5_678 Depth=2
	v_mov_b32_e32 v32, 0
	v_mov_b32_e32 v33, 0
.LBB5_716:                              ;   in Loop: Header=BB5_678 Depth=2
	s_mov_b64 s[0:1], s[20:21]
	s_mov_b32 s24, 0
	s_cbranch_execnz .LBB5_718
.LBB5_717:                              ;   in Loop: Header=BB5_678 Depth=2
	global_load_dwordx2 v[32:33], v3, s[20:21]
	s_add_i32 s24, s25, -8
.LBB5_718:                              ;   in Loop: Header=BB5_678 Depth=2
	s_add_u32 s20, s0, 8
	s_addc_u32 s21, s1, 0
	s_cmp_gt_u32 s24, 7
	s_cbranch_scc1 .LBB5_722
; %bb.719:                              ;   in Loop: Header=BB5_678 Depth=2
	s_cmp_eq_u32 s24, 0
	s_cbranch_scc1 .LBB5_723
; %bb.720:                              ;   in Loop: Header=BB5_678 Depth=2
	v_mov_b32_e32 v34, 0
	s_mov_b64 s[20:21], 0
	v_mov_b32_e32 v35, 0
	s_mov_b64 s[22:23], 0
.LBB5_721:                              ;   Parent Loop BB5_3 Depth=1
                                        ;     Parent Loop BB5_678 Depth=2
                                        ; =>    This Inner Loop Header: Depth=3
	s_add_u32 s26, s0, s22
	s_addc_u32 s27, s1, s23
	global_load_ubyte v0, v3, s[26:27]
	s_add_u32 s22, s22, 1
	s_addc_u32 s23, s23, 0
	s_waitcnt vmcnt(0)
	v_and_b32_e32 v2, 0xffff, v0
	v_lshlrev_b64 v[0:1], s20, v[2:3]
	s_add_u32 s20, s20, 8
	s_addc_u32 s21, s21, 0
	v_or_b32_e32 v34, v0, v34
	s_cmp_lg_u32 s24, s22
	v_or_b32_e32 v35, v1, v35
	s_cbranch_scc1 .LBB5_721
	s_branch .LBB5_724
.LBB5_722:                              ;   in Loop: Header=BB5_678 Depth=2
                                        ; implicit-def: $vgpr34_vgpr35
	s_mov_b32 s25, 0
	s_branch .LBB5_725
.LBB5_723:                              ;   in Loop: Header=BB5_678 Depth=2
	v_mov_b32_e32 v34, 0
	v_mov_b32_e32 v35, 0
.LBB5_724:                              ;   in Loop: Header=BB5_678 Depth=2
	s_mov_b64 s[20:21], s[0:1]
	s_mov_b32 s25, 0
	s_cbranch_execnz .LBB5_726
.LBB5_725:                              ;   in Loop: Header=BB5_678 Depth=2
	global_load_dwordx2 v[34:35], v3, s[0:1]
	s_add_i32 s25, s24, -8
.LBB5_726:                              ;   in Loop: Header=BB5_678 Depth=2
	s_cmp_gt_u32 s25, 7
	s_cbranch_scc1 .LBB5_730
; %bb.727:                              ;   in Loop: Header=BB5_678 Depth=2
	s_cmp_eq_u32 s25, 0
	s_cbranch_scc1 .LBB5_731
; %bb.728:                              ;   in Loop: Header=BB5_678 Depth=2
	v_mov_b32_e32 v36, 0
	s_mov_b64 s[0:1], 0
	v_mov_b32_e32 v37, 0
	s_mov_b64 s[22:23], s[20:21]
.LBB5_729:                              ;   Parent Loop BB5_3 Depth=1
                                        ;     Parent Loop BB5_678 Depth=2
                                        ; =>    This Inner Loop Header: Depth=3
	global_load_ubyte v0, v3, s[22:23]
	s_add_i32 s25, s25, -1
	s_waitcnt vmcnt(0)
	v_and_b32_e32 v2, 0xffff, v0
	v_lshlrev_b64 v[0:1], s0, v[2:3]
	s_add_u32 s0, s0, 8
	s_addc_u32 s1, s1, 0
	s_add_u32 s22, s22, 1
	s_addc_u32 s23, s23, 0
	v_or_b32_e32 v36, v0, v36
	s_cmp_lg_u32 s25, 0
	v_or_b32_e32 v37, v1, v37
	s_cbranch_scc1 .LBB5_729
	s_branch .LBB5_732
.LBB5_730:                              ;   in Loop: Header=BB5_678 Depth=2
	s_branch .LBB5_733
.LBB5_731:                              ;   in Loop: Header=BB5_678 Depth=2
	v_mov_b32_e32 v36, 0
	v_mov_b32_e32 v37, 0
.LBB5_732:                              ;   in Loop: Header=BB5_678 Depth=2
	s_cbranch_execnz .LBB5_734
.LBB5_733:                              ;   in Loop: Header=BB5_678 Depth=2
	global_load_dwordx2 v[36:37], v3, s[20:21]
.LBB5_734:                              ;   in Loop: Header=BB5_678 Depth=2
	v_readfirstlane_b32 s0, v47
	v_mov_b32_e32 v0, 0
	v_mov_b32_e32 v1, 0
	v_cmp_eq_u32_e64 s[0:1], s0, v47
	s_and_saveexec_b64 s[20:21], s[0:1]
	s_cbranch_execz .LBB5_740
; %bb.735:                              ;   in Loop: Header=BB5_678 Depth=2
	global_load_dwordx2 v[40:41], v3, s[2:3] offset:24 glc
	s_waitcnt vmcnt(0)
	buffer_wbinvl1_vol
	global_load_dwordx2 v[0:1], v3, s[2:3] offset:40
	global_load_dwordx2 v[4:5], v3, s[2:3]
	s_waitcnt vmcnt(1)
	v_and_b32_e32 v0, v0, v40
	v_and_b32_e32 v1, v1, v41
	v_mul_lo_u32 v1, v1, 24
	v_mul_hi_u32 v2, v0, 24
	v_mul_lo_u32 v0, v0, 24
	v_add_u32_e32 v1, v2, v1
	s_waitcnt vmcnt(0)
	v_add_co_u32_e32 v0, vcc, v4, v0
	v_addc_co_u32_e32 v1, vcc, v5, v1, vcc
	global_load_dwordx2 v[38:39], v[0:1], off glc
	s_waitcnt vmcnt(0)
	global_atomic_cmpswap_x2 v[0:1], v3, v[38:41], s[2:3] offset:24 glc
	s_waitcnt vmcnt(0)
	buffer_wbinvl1_vol
	v_cmp_ne_u64_e32 vcc, v[0:1], v[40:41]
	s_and_saveexec_b64 s[22:23], vcc
	s_cbranch_execz .LBB5_739
; %bb.736:                              ;   in Loop: Header=BB5_678 Depth=2
	s_mov_b64 s[24:25], 0
.LBB5_737:                              ;   Parent Loop BB5_3 Depth=1
                                        ;     Parent Loop BB5_678 Depth=2
                                        ; =>    This Inner Loop Header: Depth=3
	s_sleep 1
	global_load_dwordx2 v[4:5], v3, s[2:3] offset:40
	global_load_dwordx2 v[9:10], v3, s[2:3]
	v_mov_b32_e32 v41, v1
	v_mov_b32_e32 v40, v0
	s_waitcnt vmcnt(1)
	v_and_b32_e32 v0, v4, v40
	s_waitcnt vmcnt(0)
	v_mad_u64_u32 v[0:1], s[26:27], v0, 24, v[9:10]
	v_and_b32_e32 v2, v5, v41
	v_mad_u64_u32 v[1:2], s[26:27], v2, 24, v[1:2]
	global_load_dwordx2 v[38:39], v[0:1], off glc
	s_waitcnt vmcnt(0)
	global_atomic_cmpswap_x2 v[0:1], v3, v[38:41], s[2:3] offset:24 glc
	s_waitcnt vmcnt(0)
	buffer_wbinvl1_vol
	v_cmp_eq_u64_e32 vcc, v[0:1], v[40:41]
	s_or_b64 s[24:25], vcc, s[24:25]
	s_andn2_b64 exec, exec, s[24:25]
	s_cbranch_execnz .LBB5_737
; %bb.738:                              ;   in Loop: Header=BB5_678 Depth=2
	s_or_b64 exec, exec, s[24:25]
.LBB5_739:                              ;   in Loop: Header=BB5_678 Depth=2
	s_or_b64 exec, exec, s[22:23]
.LBB5_740:                              ;   in Loop: Header=BB5_678 Depth=2
	s_or_b64 exec, exec, s[20:21]
	global_load_dwordx2 v[4:5], v3, s[2:3] offset:40
	global_load_dwordx4 v[38:41], v3, s[2:3]
	v_readfirstlane_b32 s21, v1
	v_readfirstlane_b32 s20, v0
	s_mov_b64 s[22:23], exec
	s_waitcnt vmcnt(1)
	v_readfirstlane_b32 s24, v4
	v_readfirstlane_b32 s25, v5
	s_and_b64 s[24:25], s[24:25], s[20:21]
	s_mul_i32 s26, s25, 24
	s_mul_hi_u32 s27, s24, 24
	s_mul_i32 s33, s24, 24
	s_add_i32 s26, s27, s26
	v_mov_b32_e32 v1, s26
	s_waitcnt vmcnt(0)
	v_add_co_u32_e32 v0, vcc, s33, v38
	v_addc_co_u32_e32 v1, vcc, v39, v1, vcc
	s_and_saveexec_b64 s[26:27], s[0:1]
	s_cbranch_execz .LBB5_742
; %bb.741:                              ;   in Loop: Header=BB5_678 Depth=2
	v_mov_b32_e32 v4, s22
	v_mov_b32_e32 v5, s23
	global_store_dwordx4 v[0:1], v[4:7], off offset:8
.LBB5_742:                              ;   in Loop: Header=BB5_678 Depth=2
	s_or_b64 exec, exec, s[26:27]
	s_lshl_b64 s[22:23], s[24:25], 12
	v_mov_b32_e32 v2, s23
	v_add_co_u32_e32 v40, vcc, s22, v40
	v_addc_co_u32_e32 v41, vcc, v41, v2, vcc
	v_cmp_lt_u64_e64 vcc, s[16:17], 57
	s_lshl_b32 s22, s18, 2
	v_cndmask_b32_e32 v2, 0, v11, vcc
	s_add_i32 s22, s22, 28
	v_and_b32_e32 v4, 0xffffff1f, v22
	s_and_b32 s22, s22, 0x1e0
	v_or_b32_e32 v2, v4, v2
	v_or_b32_e32 v22, s22, v2
	v_readfirstlane_b32 s22, v40
	v_readfirstlane_b32 s23, v41
	s_nop 4
	global_store_dwordx4 v53, v[22:25], s[22:23]
	global_store_dwordx4 v53, v[26:29], s[22:23] offset:16
	global_store_dwordx4 v53, v[30:33], s[22:23] offset:32
	;; [unrolled: 1-line block ×3, first 2 shown]
	s_and_saveexec_b64 s[22:23], s[0:1]
	s_cbranch_execz .LBB5_750
; %bb.743:                              ;   in Loop: Header=BB5_678 Depth=2
	global_load_dwordx2 v[26:27], v3, s[2:3] offset:32 glc
	global_load_dwordx2 v[4:5], v3, s[2:3] offset:40
	v_mov_b32_e32 v24, s20
	v_mov_b32_e32 v25, s21
	s_waitcnt vmcnt(0)
	v_readfirstlane_b32 s24, v4
	v_readfirstlane_b32 s25, v5
	s_and_b64 s[24:25], s[24:25], s[20:21]
	s_mul_i32 s25, s25, 24
	s_mul_hi_u32 s26, s24, 24
	s_mul_i32 s24, s24, 24
	s_add_i32 s25, s26, s25
	v_mov_b32_e32 v2, s25
	v_add_co_u32_e32 v4, vcc, s24, v38
	v_addc_co_u32_e32 v5, vcc, v39, v2, vcc
	global_store_dwordx2 v[4:5], v[26:27], off
	s_waitcnt vmcnt(0)
	global_atomic_cmpswap_x2 v[24:25], v3, v[24:27], s[2:3] offset:32 glc
	s_waitcnt vmcnt(0)
	v_cmp_ne_u64_e32 vcc, v[24:25], v[26:27]
	s_and_saveexec_b64 s[24:25], vcc
	s_cbranch_execz .LBB5_746
; %bb.744:                              ;   in Loop: Header=BB5_678 Depth=2
	s_mov_b64 s[26:27], 0
.LBB5_745:                              ;   Parent Loop BB5_3 Depth=1
                                        ;     Parent Loop BB5_678 Depth=2
                                        ; =>    This Inner Loop Header: Depth=3
	s_sleep 1
	global_store_dwordx2 v[4:5], v[24:25], off
	v_mov_b32_e32 v22, s20
	v_mov_b32_e32 v23, s21
	s_waitcnt vmcnt(0)
	global_atomic_cmpswap_x2 v[9:10], v3, v[22:25], s[2:3] offset:32 glc
	s_waitcnt vmcnt(0)
	v_cmp_eq_u64_e32 vcc, v[9:10], v[24:25]
	v_mov_b32_e32 v25, v10
	s_or_b64 s[26:27], vcc, s[26:27]
	v_mov_b32_e32 v24, v9
	s_andn2_b64 exec, exec, s[26:27]
	s_cbranch_execnz .LBB5_745
.LBB5_746:                              ;   in Loop: Header=BB5_678 Depth=2
	s_or_b64 exec, exec, s[24:25]
	global_load_dwordx2 v[4:5], v3, s[2:3] offset:16
	s_mov_b64 s[26:27], exec
	v_mbcnt_lo_u32_b32 v2, s26, 0
	v_mbcnt_hi_u32_b32 v2, s27, v2
	v_cmp_eq_u32_e32 vcc, 0, v2
	s_and_saveexec_b64 s[24:25], vcc
	s_cbranch_execz .LBB5_748
; %bb.747:                              ;   in Loop: Header=BB5_678 Depth=2
	s_bcnt1_i32_b64 s26, s[26:27]
	v_mov_b32_e32 v2, s26
	s_waitcnt vmcnt(0)
	global_atomic_add_x2 v[4:5], v[2:3], off offset:8
.LBB5_748:                              ;   in Loop: Header=BB5_678 Depth=2
	s_or_b64 exec, exec, s[24:25]
	s_waitcnt vmcnt(0)
	global_load_dwordx2 v[9:10], v[4:5], off offset:16
	s_waitcnt vmcnt(0)
	v_cmp_eq_u64_e32 vcc, 0, v[9:10]
	s_cbranch_vccnz .LBB5_750
; %bb.749:                              ;   in Loop: Header=BB5_678 Depth=2
	global_load_dword v2, v[4:5], off offset:24
	s_waitcnt vmcnt(0)
	v_readfirstlane_b32 s24, v2
	s_and_b32 m0, s24, 0xffffff
	global_store_dwordx2 v[9:10], v[2:3], off
	s_sendmsg sendmsg(MSG_INTERRUPT)
.LBB5_750:                              ;   in Loop: Header=BB5_678 Depth=2
	s_or_b64 exec, exec, s[22:23]
	v_add_co_u32_e32 v4, vcc, v40, v53
	v_addc_co_u32_e32 v5, vcc, 0, v41, vcc
	s_branch .LBB5_754
.LBB5_751:                              ;   in Loop: Header=BB5_754 Depth=3
	s_or_b64 exec, exec, s[22:23]
	v_readfirstlane_b32 s22, v2
	s_cmp_eq_u32 s22, 0
	s_cbranch_scc1 .LBB5_753
; %bb.752:                              ;   in Loop: Header=BB5_754 Depth=3
	s_sleep 1
	s_cbranch_execnz .LBB5_754
	s_branch .LBB5_756
.LBB5_753:                              ;   in Loop: Header=BB5_678 Depth=2
	s_branch .LBB5_756
.LBB5_754:                              ;   Parent Loop BB5_3 Depth=1
                                        ;     Parent Loop BB5_678 Depth=2
                                        ; =>    This Inner Loop Header: Depth=3
	v_mov_b32_e32 v2, 1
	s_and_saveexec_b64 s[22:23], s[0:1]
	s_cbranch_execz .LBB5_751
; %bb.755:                              ;   in Loop: Header=BB5_754 Depth=3
	global_load_dword v2, v[0:1], off offset:20 glc
	s_waitcnt vmcnt(0)
	buffer_wbinvl1_vol
	v_and_b32_e32 v2, 1, v2
	s_branch .LBB5_751
.LBB5_756:                              ;   in Loop: Header=BB5_678 Depth=2
	global_load_dwordx2 v[22:23], v[4:5], off
	s_and_saveexec_b64 s[22:23], s[0:1]
	s_cbranch_execz .LBB5_677
; %bb.757:                              ;   in Loop: Header=BB5_678 Depth=2
	global_load_dwordx2 v[0:1], v3, s[2:3] offset:40
	global_load_dwordx2 v[28:29], v3, s[2:3] offset:24 glc
	global_load_dwordx2 v[4:5], v3, s[2:3]
	s_waitcnt vmcnt(2)
	v_readfirstlane_b32 s24, v0
	v_readfirstlane_b32 s25, v1
	s_add_u32 s26, s24, 1
	s_addc_u32 s27, s25, 0
	s_add_u32 s0, s26, s20
	s_addc_u32 s1, s27, s21
	s_cmp_eq_u64 s[0:1], 0
	s_cselect_b32 s1, s27, s1
	s_cselect_b32 s0, s26, s0
	s_and_b64 s[20:21], s[0:1], s[24:25]
	s_mul_i32 s21, s21, 24
	s_mul_hi_u32 s24, s20, 24
	s_mul_i32 s20, s20, 24
	s_add_i32 s21, s24, s21
	v_mov_b32_e32 v1, s21
	s_waitcnt vmcnt(0)
	v_add_co_u32_e32 v0, vcc, s20, v4
	v_addc_co_u32_e32 v1, vcc, v5, v1, vcc
	v_mov_b32_e32 v26, s0
	global_store_dwordx2 v[0:1], v[28:29], off
	v_mov_b32_e32 v27, s1
	s_waitcnt vmcnt(0)
	global_atomic_cmpswap_x2 v[26:27], v3, v[26:29], s[2:3] offset:24 glc
	s_waitcnt vmcnt(0)
	v_cmp_ne_u64_e32 vcc, v[26:27], v[28:29]
	s_and_b64 exec, exec, vcc
	s_cbranch_execz .LBB5_677
; %bb.758:                              ;   in Loop: Header=BB5_678 Depth=2
	s_mov_b64 s[20:21], 0
.LBB5_759:                              ;   Parent Loop BB5_3 Depth=1
                                        ;     Parent Loop BB5_678 Depth=2
                                        ; =>    This Inner Loop Header: Depth=3
	s_sleep 1
	global_store_dwordx2 v[0:1], v[26:27], off
	v_mov_b32_e32 v24, s0
	v_mov_b32_e32 v25, s1
	s_waitcnt vmcnt(0)
	global_atomic_cmpswap_x2 v[4:5], v3, v[24:27], s[2:3] offset:24 glc
	s_waitcnt vmcnt(0)
	v_cmp_eq_u64_e32 vcc, v[4:5], v[26:27]
	v_mov_b32_e32 v27, v5
	s_or_b64 s[20:21], vcc, s[20:21]
	v_mov_b32_e32 v26, v4
	s_andn2_b64 exec, exec, s[20:21]
	s_cbranch_execnz .LBB5_759
	s_branch .LBB5_677
.LBB5_760:                              ;   in Loop: Header=BB5_3 Depth=1
	s_branch .LBB5_817
.LBB5_761:                              ;   in Loop: Header=BB5_3 Depth=1
                                        ; implicit-def: $vgpr20_vgpr21
	s_cbranch_execz .LBB5_675
; %bb.762:                              ;   in Loop: Header=BB5_3 Depth=1
	v_readfirstlane_b32 s0, v47
	v_mov_b32_e32 v4, 0
	v_mov_b32_e32 v5, 0
	v_cmp_eq_u32_e64 s[0:1], s0, v47
	s_and_saveexec_b64 s[14:15], s[0:1]
	s_cbranch_execz .LBB5_768
; %bb.763:                              ;   in Loop: Header=BB5_3 Depth=1
	global_load_dwordx2 v[22:23], v3, s[2:3] offset:24 glc
	s_waitcnt vmcnt(0)
	buffer_wbinvl1_vol
	global_load_dwordx2 v[4:5], v3, s[2:3] offset:40
	global_load_dwordx2 v[9:10], v3, s[2:3]
	s_waitcnt vmcnt(1)
	v_and_b32_e32 v2, v4, v22
	v_and_b32_e32 v4, v5, v23
	v_mul_lo_u32 v4, v4, 24
	v_mul_hi_u32 v5, v2, 24
	v_mul_lo_u32 v2, v2, 24
	v_add_u32_e32 v5, v5, v4
	s_waitcnt vmcnt(0)
	v_add_co_u32_e32 v4, vcc, v9, v2
	v_addc_co_u32_e32 v5, vcc, v10, v5, vcc
	global_load_dwordx2 v[20:21], v[4:5], off glc
	s_waitcnt vmcnt(0)
	global_atomic_cmpswap_x2 v[4:5], v3, v[20:23], s[2:3] offset:24 glc
	s_waitcnt vmcnt(0)
	buffer_wbinvl1_vol
	v_cmp_ne_u64_e32 vcc, v[4:5], v[22:23]
	s_and_saveexec_b64 s[16:17], vcc
	s_cbranch_execz .LBB5_767
; %bb.764:                              ;   in Loop: Header=BB5_3 Depth=1
	s_mov_b64 s[18:19], 0
.LBB5_765:                              ;   Parent Loop BB5_3 Depth=1
                                        ; =>  This Inner Loop Header: Depth=2
	s_sleep 1
	global_load_dwordx2 v[9:10], v3, s[2:3] offset:40
	global_load_dwordx2 v[20:21], v3, s[2:3]
	v_mov_b32_e32 v23, v5
	v_mov_b32_e32 v22, v4
	s_waitcnt vmcnt(1)
	v_and_b32_e32 v2, v9, v22
	s_waitcnt vmcnt(0)
	v_mad_u64_u32 v[4:5], s[20:21], v2, 24, v[20:21]
	v_and_b32_e32 v9, v10, v23
	v_mov_b32_e32 v2, v5
	v_mad_u64_u32 v[9:10], s[20:21], v9, 24, v[2:3]
	v_mov_b32_e32 v5, v9
	global_load_dwordx2 v[20:21], v[4:5], off glc
	s_waitcnt vmcnt(0)
	global_atomic_cmpswap_x2 v[4:5], v3, v[20:23], s[2:3] offset:24 glc
	s_waitcnt vmcnt(0)
	buffer_wbinvl1_vol
	v_cmp_eq_u64_e32 vcc, v[4:5], v[22:23]
	s_or_b64 s[18:19], vcc, s[18:19]
	s_andn2_b64 exec, exec, s[18:19]
	s_cbranch_execnz .LBB5_765
; %bb.766:                              ;   in Loop: Header=BB5_3 Depth=1
	s_or_b64 exec, exec, s[18:19]
.LBB5_767:                              ;   in Loop: Header=BB5_3 Depth=1
	s_or_b64 exec, exec, s[16:17]
.LBB5_768:                              ;   in Loop: Header=BB5_3 Depth=1
	s_or_b64 exec, exec, s[14:15]
	global_load_dwordx2 v[9:10], v3, s[2:3] offset:40
	global_load_dwordx4 v[20:23], v3, s[2:3]
	v_readfirstlane_b32 s15, v5
	v_readfirstlane_b32 s14, v4
	s_mov_b64 s[16:17], exec
	s_waitcnt vmcnt(1)
	v_readfirstlane_b32 s18, v9
	v_readfirstlane_b32 s19, v10
	s_and_b64 s[18:19], s[18:19], s[14:15]
	s_mul_i32 s20, s19, 24
	s_mul_hi_u32 s21, s18, 24
	s_mul_i32 s22, s18, 24
	s_add_i32 s20, s21, s20
	v_mov_b32_e32 v2, s20
	s_waitcnt vmcnt(0)
	v_add_co_u32_e32 v9, vcc, s22, v20
	v_addc_co_u32_e32 v10, vcc, v21, v2, vcc
	s_and_saveexec_b64 s[20:21], s[0:1]
	s_cbranch_execz .LBB5_770
; %bb.769:                              ;   in Loop: Header=BB5_3 Depth=1
	v_mov_b32_e32 v4, s16
	v_mov_b32_e32 v5, s17
	global_store_dwordx4 v[9:10], v[4:7], off offset:8
.LBB5_770:                              ;   in Loop: Header=BB5_3 Depth=1
	s_or_b64 exec, exec, s[20:21]
	s_lshl_b64 s[16:17], s[18:19], 12
	v_mov_b32_e32 v2, s17
	v_add_co_u32_e32 v11, vcc, s16, v22
	v_addc_co_u32_e32 v24, vcc, v23, v2, vcc
	v_mov_b32_e32 v28, s11
	v_and_or_b32 v0, v0, s29, 32
	v_mov_b32_e32 v2, v3
	v_readfirstlane_b32 s16, v11
	v_readfirstlane_b32 s17, v24
	v_mov_b32_e32 v27, s10
	v_mov_b32_e32 v26, s9
	;; [unrolled: 1-line block ×3, first 2 shown]
	s_nop 1
	global_store_dwordx4 v53, v[0:3], s[16:17]
	global_store_dwordx4 v53, v[25:28], s[16:17] offset:16
	global_store_dwordx4 v53, v[25:28], s[16:17] offset:32
	;; [unrolled: 1-line block ×3, first 2 shown]
	s_and_saveexec_b64 s[16:17], s[0:1]
	s_cbranch_execz .LBB5_778
; %bb.771:                              ;   in Loop: Header=BB5_3 Depth=1
	global_load_dwordx2 v[27:28], v3, s[2:3] offset:32 glc
	global_load_dwordx2 v[0:1], v3, s[2:3] offset:40
	v_mov_b32_e32 v25, s14
	v_mov_b32_e32 v26, s15
	s_waitcnt vmcnt(0)
	v_readfirstlane_b32 s18, v0
	v_readfirstlane_b32 s19, v1
	s_and_b64 s[18:19], s[18:19], s[14:15]
	s_mul_i32 s19, s19, 24
	s_mul_hi_u32 s20, s18, 24
	s_mul_i32 s18, s18, 24
	s_add_i32 s19, s20, s19
	v_mov_b32_e32 v1, s19
	v_add_co_u32_e32 v0, vcc, s18, v20
	v_addc_co_u32_e32 v1, vcc, v21, v1, vcc
	global_store_dwordx2 v[0:1], v[27:28], off
	s_waitcnt vmcnt(0)
	global_atomic_cmpswap_x2 v[22:23], v3, v[25:28], s[2:3] offset:32 glc
	s_waitcnt vmcnt(0)
	v_cmp_ne_u64_e32 vcc, v[22:23], v[27:28]
	s_and_saveexec_b64 s[18:19], vcc
	s_cbranch_execz .LBB5_774
; %bb.772:                              ;   in Loop: Header=BB5_3 Depth=1
	s_mov_b64 s[20:21], 0
.LBB5_773:                              ;   Parent Loop BB5_3 Depth=1
                                        ; =>  This Inner Loop Header: Depth=2
	s_sleep 1
	global_store_dwordx2 v[0:1], v[22:23], off
	v_mov_b32_e32 v20, s14
	v_mov_b32_e32 v21, s15
	s_waitcnt vmcnt(0)
	global_atomic_cmpswap_x2 v[4:5], v3, v[20:23], s[2:3] offset:32 glc
	s_waitcnt vmcnt(0)
	v_cmp_eq_u64_e32 vcc, v[4:5], v[22:23]
	v_mov_b32_e32 v23, v5
	s_or_b64 s[20:21], vcc, s[20:21]
	v_mov_b32_e32 v22, v4
	s_andn2_b64 exec, exec, s[20:21]
	s_cbranch_execnz .LBB5_773
.LBB5_774:                              ;   in Loop: Header=BB5_3 Depth=1
	s_or_b64 exec, exec, s[18:19]
	global_load_dwordx2 v[0:1], v3, s[2:3] offset:16
	s_mov_b64 s[20:21], exec
	v_mbcnt_lo_u32_b32 v2, s20, 0
	v_mbcnt_hi_u32_b32 v2, s21, v2
	v_cmp_eq_u32_e32 vcc, 0, v2
	s_and_saveexec_b64 s[18:19], vcc
	s_cbranch_execz .LBB5_776
; %bb.775:                              ;   in Loop: Header=BB5_3 Depth=1
	s_bcnt1_i32_b64 s20, s[20:21]
	v_mov_b32_e32 v2, s20
	s_waitcnt vmcnt(0)
	global_atomic_add_x2 v[0:1], v[2:3], off offset:8
.LBB5_776:                              ;   in Loop: Header=BB5_3 Depth=1
	s_or_b64 exec, exec, s[18:19]
	s_waitcnt vmcnt(0)
	global_load_dwordx2 v[4:5], v[0:1], off offset:16
	s_waitcnt vmcnt(0)
	v_cmp_eq_u64_e32 vcc, 0, v[4:5]
	s_cbranch_vccnz .LBB5_778
; %bb.777:                              ;   in Loop: Header=BB5_3 Depth=1
	global_load_dword v2, v[0:1], off offset:24
	s_waitcnt vmcnt(0)
	v_readfirstlane_b32 s18, v2
	s_and_b32 m0, s18, 0xffffff
	global_store_dwordx2 v[4:5], v[2:3], off
	s_sendmsg sendmsg(MSG_INTERRUPT)
.LBB5_778:                              ;   in Loop: Header=BB5_3 Depth=1
	s_or_b64 exec, exec, s[16:17]
	v_add_co_u32_e32 v0, vcc, v11, v53
	v_addc_co_u32_e32 v1, vcc, 0, v24, vcc
	s_branch .LBB5_782
.LBB5_779:                              ;   in Loop: Header=BB5_782 Depth=2
	s_or_b64 exec, exec, s[16:17]
	v_readfirstlane_b32 s16, v2
	s_cmp_eq_u32 s16, 0
	s_cbranch_scc1 .LBB5_781
; %bb.780:                              ;   in Loop: Header=BB5_782 Depth=2
	s_sleep 1
	s_cbranch_execnz .LBB5_782
	s_branch .LBB5_784
.LBB5_781:                              ;   in Loop: Header=BB5_3 Depth=1
	s_branch .LBB5_784
.LBB5_782:                              ;   Parent Loop BB5_3 Depth=1
                                        ; =>  This Inner Loop Header: Depth=2
	v_mov_b32_e32 v2, 1
	s_and_saveexec_b64 s[16:17], s[0:1]
	s_cbranch_execz .LBB5_779
; %bb.783:                              ;   in Loop: Header=BB5_782 Depth=2
	global_load_dword v2, v[9:10], off offset:20 glc
	s_waitcnt vmcnt(0)
	buffer_wbinvl1_vol
	v_and_b32_e32 v2, 1, v2
	s_branch .LBB5_779
.LBB5_784:                              ;   in Loop: Header=BB5_3 Depth=1
	global_load_dwordx2 v[20:21], v[0:1], off
	s_and_saveexec_b64 s[16:17], s[0:1]
	s_cbranch_execz .LBB5_788
; %bb.785:                              ;   in Loop: Header=BB5_3 Depth=1
	global_load_dwordx2 v[0:1], v3, s[2:3] offset:40
	global_load_dwordx2 v[26:27], v3, s[2:3] offset:24 glc
	global_load_dwordx2 v[4:5], v3, s[2:3]
	s_waitcnt vmcnt(2)
	v_readfirstlane_b32 s18, v0
	v_readfirstlane_b32 s19, v1
	s_add_u32 s20, s18, 1
	s_addc_u32 s21, s19, 0
	s_add_u32 s0, s20, s14
	s_addc_u32 s1, s21, s15
	s_cmp_eq_u64 s[0:1], 0
	s_cselect_b32 s1, s21, s1
	s_cselect_b32 s0, s20, s0
	s_and_b64 s[14:15], s[0:1], s[18:19]
	s_mul_i32 s15, s15, 24
	s_mul_hi_u32 s18, s14, 24
	s_mul_i32 s14, s14, 24
	s_add_i32 s15, s18, s15
	v_mov_b32_e32 v1, s15
	s_waitcnt vmcnt(0)
	v_add_co_u32_e32 v0, vcc, s14, v4
	v_addc_co_u32_e32 v1, vcc, v5, v1, vcc
	v_mov_b32_e32 v24, s0
	global_store_dwordx2 v[0:1], v[26:27], off
	v_mov_b32_e32 v25, s1
	s_waitcnt vmcnt(0)
	global_atomic_cmpswap_x2 v[24:25], v3, v[24:27], s[2:3] offset:24 glc
	s_waitcnt vmcnt(0)
	v_cmp_ne_u64_e32 vcc, v[24:25], v[26:27]
	s_and_b64 exec, exec, vcc
	s_cbranch_execz .LBB5_788
; %bb.786:                              ;   in Loop: Header=BB5_3 Depth=1
	s_mov_b64 s[14:15], 0
.LBB5_787:                              ;   Parent Loop BB5_3 Depth=1
                                        ; =>  This Inner Loop Header: Depth=2
	s_sleep 1
	global_store_dwordx2 v[0:1], v[24:25], off
	v_mov_b32_e32 v22, s0
	v_mov_b32_e32 v23, s1
	s_waitcnt vmcnt(0)
	global_atomic_cmpswap_x2 v[4:5], v3, v[22:25], s[2:3] offset:24 glc
	s_waitcnt vmcnt(0)
	v_cmp_eq_u64_e32 vcc, v[4:5], v[24:25]
	v_mov_b32_e32 v25, v5
	s_or_b64 s[14:15], vcc, s[14:15]
	v_mov_b32_e32 v24, v4
	s_andn2_b64 exec, exec, s[14:15]
	s_cbranch_execnz .LBB5_787
.LBB5_788:                              ;   in Loop: Header=BB5_3 Depth=1
	s_or_b64 exec, exec, s[16:17]
	s_and_b64 vcc, exec, s[12:13]
	s_cbranch_vccnz .LBB5_676
.LBB5_789:                              ;   in Loop: Header=BB5_3 Depth=1
                                        ; implicit-def: $vgpr22_vgpr23
	s_cbranch_execz .LBB5_817
; %bb.790:                              ;   in Loop: Header=BB5_3 Depth=1
	v_readfirstlane_b32 s0, v47
	s_waitcnt vmcnt(0)
	v_mov_b32_e32 v0, 0
	v_mov_b32_e32 v1, 0
	v_cmp_eq_u32_e64 s[0:1], s0, v47
	s_and_saveexec_b64 s[14:15], s[0:1]
	s_cbranch_execz .LBB5_796
; %bb.791:                              ;   in Loop: Header=BB5_3 Depth=1
	global_load_dwordx2 v[24:25], v3, s[2:3] offset:24 glc
	s_waitcnt vmcnt(0)
	buffer_wbinvl1_vol
	global_load_dwordx2 v[0:1], v3, s[2:3] offset:40
	global_load_dwordx2 v[4:5], v3, s[2:3]
	s_waitcnt vmcnt(1)
	v_and_b32_e32 v0, v0, v24
	v_and_b32_e32 v1, v1, v25
	v_mul_lo_u32 v1, v1, 24
	v_mul_hi_u32 v2, v0, 24
	v_mul_lo_u32 v0, v0, 24
	v_add_u32_e32 v1, v2, v1
	s_waitcnt vmcnt(0)
	v_add_co_u32_e32 v0, vcc, v4, v0
	v_addc_co_u32_e32 v1, vcc, v5, v1, vcc
	global_load_dwordx2 v[22:23], v[0:1], off glc
	s_waitcnt vmcnt(0)
	global_atomic_cmpswap_x2 v[0:1], v3, v[22:25], s[2:3] offset:24 glc
	s_waitcnt vmcnt(0)
	buffer_wbinvl1_vol
	v_cmp_ne_u64_e32 vcc, v[0:1], v[24:25]
	s_and_saveexec_b64 s[16:17], vcc
	s_cbranch_execz .LBB5_795
; %bb.792:                              ;   in Loop: Header=BB5_3 Depth=1
	s_mov_b64 s[18:19], 0
.LBB5_793:                              ;   Parent Loop BB5_3 Depth=1
                                        ; =>  This Inner Loop Header: Depth=2
	s_sleep 1
	global_load_dwordx2 v[4:5], v3, s[2:3] offset:40
	global_load_dwordx2 v[9:10], v3, s[2:3]
	v_mov_b32_e32 v25, v1
	v_mov_b32_e32 v24, v0
	s_waitcnt vmcnt(1)
	v_and_b32_e32 v0, v4, v24
	s_waitcnt vmcnt(0)
	v_mad_u64_u32 v[0:1], s[20:21], v0, 24, v[9:10]
	v_and_b32_e32 v2, v5, v25
	v_mad_u64_u32 v[1:2], s[20:21], v2, 24, v[1:2]
	global_load_dwordx2 v[22:23], v[0:1], off glc
	s_waitcnt vmcnt(0)
	global_atomic_cmpswap_x2 v[0:1], v3, v[22:25], s[2:3] offset:24 glc
	s_waitcnt vmcnt(0)
	buffer_wbinvl1_vol
	v_cmp_eq_u64_e32 vcc, v[0:1], v[24:25]
	s_or_b64 s[18:19], vcc, s[18:19]
	s_andn2_b64 exec, exec, s[18:19]
	s_cbranch_execnz .LBB5_793
; %bb.794:                              ;   in Loop: Header=BB5_3 Depth=1
	s_or_b64 exec, exec, s[18:19]
.LBB5_795:                              ;   in Loop: Header=BB5_3 Depth=1
	s_or_b64 exec, exec, s[16:17]
.LBB5_796:                              ;   in Loop: Header=BB5_3 Depth=1
	s_or_b64 exec, exec, s[14:15]
	global_load_dwordx2 v[4:5], v3, s[2:3] offset:40
	global_load_dwordx4 v[24:27], v3, s[2:3]
	v_readfirstlane_b32 s15, v1
	v_readfirstlane_b32 s14, v0
	s_mov_b64 s[16:17], exec
	s_waitcnt vmcnt(1)
	v_readfirstlane_b32 s18, v4
	v_readfirstlane_b32 s19, v5
	s_and_b64 s[18:19], s[18:19], s[14:15]
	s_mul_i32 s20, s19, 24
	s_mul_hi_u32 s21, s18, 24
	s_mul_i32 s22, s18, 24
	s_add_i32 s20, s21, s20
	v_mov_b32_e32 v1, s20
	s_waitcnt vmcnt(0)
	v_add_co_u32_e32 v0, vcc, s22, v24
	v_addc_co_u32_e32 v1, vcc, v25, v1, vcc
	s_and_saveexec_b64 s[20:21], s[0:1]
	s_cbranch_execz .LBB5_798
; %bb.797:                              ;   in Loop: Header=BB5_3 Depth=1
	v_mov_b32_e32 v4, s16
	v_mov_b32_e32 v5, s17
	global_store_dwordx4 v[0:1], v[4:7], off offset:8
.LBB5_798:                              ;   in Loop: Header=BB5_3 Depth=1
	s_or_b64 exec, exec, s[20:21]
	s_lshl_b64 s[16:17], s[18:19], 12
	v_mov_b32_e32 v2, s17
	v_add_co_u32_e32 v11, vcc, s16, v26
	v_addc_co_u32_e32 v26, vcc, v27, v2, vcc
	v_and_or_b32 v20, v20, s29, 32
	v_mov_b32_e32 v22, v3
	v_mov_b32_e32 v23, v3
	v_readfirstlane_b32 s16, v11
	v_readfirstlane_b32 s17, v26
	s_nop 4
	global_store_dwordx4 v53, v[20:23], s[16:17]
	s_nop 0
	v_mov_b32_e32 v23, s11
	v_mov_b32_e32 v22, s10
	;; [unrolled: 1-line block ×4, first 2 shown]
	global_store_dwordx4 v53, v[20:23], s[16:17] offset:16
	global_store_dwordx4 v53, v[20:23], s[16:17] offset:32
	;; [unrolled: 1-line block ×3, first 2 shown]
	s_and_saveexec_b64 s[16:17], s[0:1]
	s_cbranch_execz .LBB5_806
; %bb.799:                              ;   in Loop: Header=BB5_3 Depth=1
	global_load_dwordx2 v[29:30], v3, s[2:3] offset:32 glc
	global_load_dwordx2 v[4:5], v3, s[2:3] offset:40
	v_mov_b32_e32 v27, s14
	v_mov_b32_e32 v28, s15
	s_waitcnt vmcnt(0)
	v_readfirstlane_b32 s18, v4
	v_readfirstlane_b32 s19, v5
	s_and_b64 s[18:19], s[18:19], s[14:15]
	s_mul_i32 s19, s19, 24
	s_mul_hi_u32 s20, s18, 24
	s_mul_i32 s18, s18, 24
	s_add_i32 s19, s20, s19
	v_mov_b32_e32 v2, s19
	v_add_co_u32_e32 v4, vcc, s18, v24
	v_addc_co_u32_e32 v5, vcc, v25, v2, vcc
	global_store_dwordx2 v[4:5], v[29:30], off
	s_waitcnt vmcnt(0)
	global_atomic_cmpswap_x2 v[22:23], v3, v[27:30], s[2:3] offset:32 glc
	s_waitcnt vmcnt(0)
	v_cmp_ne_u64_e32 vcc, v[22:23], v[29:30]
	s_and_saveexec_b64 s[18:19], vcc
	s_cbranch_execz .LBB5_802
; %bb.800:                              ;   in Loop: Header=BB5_3 Depth=1
	s_mov_b64 s[20:21], 0
.LBB5_801:                              ;   Parent Loop BB5_3 Depth=1
                                        ; =>  This Inner Loop Header: Depth=2
	s_sleep 1
	global_store_dwordx2 v[4:5], v[22:23], off
	v_mov_b32_e32 v20, s14
	v_mov_b32_e32 v21, s15
	s_waitcnt vmcnt(0)
	global_atomic_cmpswap_x2 v[9:10], v3, v[20:23], s[2:3] offset:32 glc
	s_waitcnt vmcnt(0)
	v_cmp_eq_u64_e32 vcc, v[9:10], v[22:23]
	v_mov_b32_e32 v23, v10
	s_or_b64 s[20:21], vcc, s[20:21]
	v_mov_b32_e32 v22, v9
	s_andn2_b64 exec, exec, s[20:21]
	s_cbranch_execnz .LBB5_801
.LBB5_802:                              ;   in Loop: Header=BB5_3 Depth=1
	s_or_b64 exec, exec, s[18:19]
	global_load_dwordx2 v[4:5], v3, s[2:3] offset:16
	s_mov_b64 s[20:21], exec
	v_mbcnt_lo_u32_b32 v2, s20, 0
	v_mbcnt_hi_u32_b32 v2, s21, v2
	v_cmp_eq_u32_e32 vcc, 0, v2
	s_and_saveexec_b64 s[18:19], vcc
	s_cbranch_execz .LBB5_804
; %bb.803:                              ;   in Loop: Header=BB5_3 Depth=1
	s_bcnt1_i32_b64 s20, s[20:21]
	v_mov_b32_e32 v2, s20
	s_waitcnt vmcnt(0)
	global_atomic_add_x2 v[4:5], v[2:3], off offset:8
.LBB5_804:                              ;   in Loop: Header=BB5_3 Depth=1
	s_or_b64 exec, exec, s[18:19]
	s_waitcnt vmcnt(0)
	global_load_dwordx2 v[9:10], v[4:5], off offset:16
	s_waitcnt vmcnt(0)
	v_cmp_eq_u64_e32 vcc, 0, v[9:10]
	s_cbranch_vccnz .LBB5_806
; %bb.805:                              ;   in Loop: Header=BB5_3 Depth=1
	global_load_dword v2, v[4:5], off offset:24
	s_waitcnt vmcnt(0)
	v_readfirstlane_b32 s18, v2
	s_and_b32 m0, s18, 0xffffff
	global_store_dwordx2 v[9:10], v[2:3], off
	s_sendmsg sendmsg(MSG_INTERRUPT)
.LBB5_806:                              ;   in Loop: Header=BB5_3 Depth=1
	s_or_b64 exec, exec, s[16:17]
	v_add_co_u32_e32 v4, vcc, v11, v53
	v_addc_co_u32_e32 v5, vcc, 0, v26, vcc
	s_branch .LBB5_810
.LBB5_807:                              ;   in Loop: Header=BB5_810 Depth=2
	s_or_b64 exec, exec, s[16:17]
	v_readfirstlane_b32 s16, v2
	s_cmp_eq_u32 s16, 0
	s_cbranch_scc1 .LBB5_809
; %bb.808:                              ;   in Loop: Header=BB5_810 Depth=2
	s_sleep 1
	s_cbranch_execnz .LBB5_810
	s_branch .LBB5_812
.LBB5_809:                              ;   in Loop: Header=BB5_3 Depth=1
	s_branch .LBB5_812
.LBB5_810:                              ;   Parent Loop BB5_3 Depth=1
                                        ; =>  This Inner Loop Header: Depth=2
	v_mov_b32_e32 v2, 1
	s_and_saveexec_b64 s[16:17], s[0:1]
	s_cbranch_execz .LBB5_807
; %bb.811:                              ;   in Loop: Header=BB5_810 Depth=2
	global_load_dword v2, v[0:1], off offset:20 glc
	s_waitcnt vmcnt(0)
	buffer_wbinvl1_vol
	v_and_b32_e32 v2, 1, v2
	s_branch .LBB5_807
.LBB5_812:                              ;   in Loop: Header=BB5_3 Depth=1
	global_load_dwordx2 v[22:23], v[4:5], off
	s_and_saveexec_b64 s[16:17], s[0:1]
	s_cbranch_execz .LBB5_816
; %bb.813:                              ;   in Loop: Header=BB5_3 Depth=1
	global_load_dwordx2 v[0:1], v3, s[2:3] offset:40
	global_load_dwordx2 v[28:29], v3, s[2:3] offset:24 glc
	global_load_dwordx2 v[4:5], v3, s[2:3]
	s_waitcnt vmcnt(2)
	v_readfirstlane_b32 s18, v0
	v_readfirstlane_b32 s19, v1
	s_add_u32 s20, s18, 1
	s_addc_u32 s21, s19, 0
	s_add_u32 s0, s20, s14
	s_addc_u32 s1, s21, s15
	s_cmp_eq_u64 s[0:1], 0
	s_cselect_b32 s1, s21, s1
	s_cselect_b32 s0, s20, s0
	s_and_b64 s[14:15], s[0:1], s[18:19]
	s_mul_i32 s15, s15, 24
	s_mul_hi_u32 s18, s14, 24
	s_mul_i32 s14, s14, 24
	s_add_i32 s15, s18, s15
	v_mov_b32_e32 v1, s15
	s_waitcnt vmcnt(0)
	v_add_co_u32_e32 v0, vcc, s14, v4
	v_addc_co_u32_e32 v1, vcc, v5, v1, vcc
	v_mov_b32_e32 v26, s0
	global_store_dwordx2 v[0:1], v[28:29], off
	v_mov_b32_e32 v27, s1
	s_waitcnt vmcnt(0)
	global_atomic_cmpswap_x2 v[26:27], v3, v[26:29], s[2:3] offset:24 glc
	s_waitcnt vmcnt(0)
	v_cmp_ne_u64_e32 vcc, v[26:27], v[28:29]
	s_and_b64 exec, exec, vcc
	s_cbranch_execz .LBB5_816
; %bb.814:                              ;   in Loop: Header=BB5_3 Depth=1
	s_mov_b64 s[14:15], 0
.LBB5_815:                              ;   Parent Loop BB5_3 Depth=1
                                        ; =>  This Inner Loop Header: Depth=2
	s_sleep 1
	global_store_dwordx2 v[0:1], v[26:27], off
	v_mov_b32_e32 v24, s0
	v_mov_b32_e32 v25, s1
	s_waitcnt vmcnt(0)
	global_atomic_cmpswap_x2 v[4:5], v3, v[24:27], s[2:3] offset:24 glc
	s_waitcnt vmcnt(0)
	v_cmp_eq_u64_e32 vcc, v[4:5], v[26:27]
	v_mov_b32_e32 v27, v5
	s_or_b64 s[14:15], vcc, s[14:15]
	v_mov_b32_e32 v26, v4
	s_andn2_b64 exec, exec, s[14:15]
	s_cbranch_execnz .LBB5_815
.LBB5_816:                              ;   in Loop: Header=BB5_3 Depth=1
	s_or_b64 exec, exec, s[16:17]
.LBB5_817:                              ;   in Loop: Header=BB5_3 Depth=1
	v_readfirstlane_b32 s0, v47
	s_waitcnt vmcnt(0)
	v_mov_b32_e32 v0, 0
	v_mov_b32_e32 v1, 0
	v_cmp_eq_u32_e64 s[0:1], s0, v47
	s_and_saveexec_b64 s[14:15], s[0:1]
	s_cbranch_execz .LBB5_823
; %bb.818:                              ;   in Loop: Header=BB5_3 Depth=1
	global_load_dwordx2 v[26:27], v3, s[2:3] offset:24 glc
	s_waitcnt vmcnt(0)
	buffer_wbinvl1_vol
	global_load_dwordx2 v[0:1], v3, s[2:3] offset:40
	global_load_dwordx2 v[4:5], v3, s[2:3]
	s_waitcnt vmcnt(1)
	v_and_b32_e32 v0, v0, v26
	v_and_b32_e32 v1, v1, v27
	v_mul_lo_u32 v1, v1, 24
	v_mul_hi_u32 v2, v0, 24
	v_mul_lo_u32 v0, v0, 24
	v_add_u32_e32 v1, v2, v1
	s_waitcnt vmcnt(0)
	v_add_co_u32_e32 v0, vcc, v4, v0
	v_addc_co_u32_e32 v1, vcc, v5, v1, vcc
	global_load_dwordx2 v[24:25], v[0:1], off glc
	s_waitcnt vmcnt(0)
	global_atomic_cmpswap_x2 v[0:1], v3, v[24:27], s[2:3] offset:24 glc
	s_waitcnt vmcnt(0)
	buffer_wbinvl1_vol
	v_cmp_ne_u64_e32 vcc, v[0:1], v[26:27]
	s_and_saveexec_b64 s[16:17], vcc
	s_cbranch_execz .LBB5_822
; %bb.819:                              ;   in Loop: Header=BB5_3 Depth=1
	s_mov_b64 s[18:19], 0
.LBB5_820:                              ;   Parent Loop BB5_3 Depth=1
                                        ; =>  This Inner Loop Header: Depth=2
	s_sleep 1
	global_load_dwordx2 v[4:5], v3, s[2:3] offset:40
	global_load_dwordx2 v[9:10], v3, s[2:3]
	v_mov_b32_e32 v27, v1
	v_mov_b32_e32 v26, v0
	s_waitcnt vmcnt(1)
	v_and_b32_e32 v0, v4, v26
	s_waitcnt vmcnt(0)
	v_mad_u64_u32 v[0:1], s[20:21], v0, 24, v[9:10]
	v_and_b32_e32 v2, v5, v27
	v_mad_u64_u32 v[1:2], s[20:21], v2, 24, v[1:2]
	global_load_dwordx2 v[24:25], v[0:1], off glc
	s_waitcnt vmcnt(0)
	global_atomic_cmpswap_x2 v[0:1], v3, v[24:27], s[2:3] offset:24 glc
	s_waitcnt vmcnt(0)
	buffer_wbinvl1_vol
	v_cmp_eq_u64_e32 vcc, v[0:1], v[26:27]
	s_or_b64 s[18:19], vcc, s[18:19]
	s_andn2_b64 exec, exec, s[18:19]
	s_cbranch_execnz .LBB5_820
; %bb.821:                              ;   in Loop: Header=BB5_3 Depth=1
	s_or_b64 exec, exec, s[18:19]
.LBB5_822:                              ;   in Loop: Header=BB5_3 Depth=1
	s_or_b64 exec, exec, s[16:17]
.LBB5_823:                              ;   in Loop: Header=BB5_3 Depth=1
	s_or_b64 exec, exec, s[14:15]
	global_load_dwordx2 v[4:5], v3, s[2:3] offset:40
	global_load_dwordx4 v[26:29], v3, s[2:3]
	v_readfirstlane_b32 s15, v1
	v_readfirstlane_b32 s14, v0
	s_mov_b64 s[16:17], exec
	s_waitcnt vmcnt(1)
	v_readfirstlane_b32 s18, v4
	v_readfirstlane_b32 s19, v5
	s_and_b64 s[18:19], s[18:19], s[14:15]
	s_mul_i32 s20, s19, 24
	s_mul_hi_u32 s21, s18, 24
	s_mul_i32 s22, s18, 24
	s_add_i32 s20, s21, s20
	v_mov_b32_e32 v1, s20
	s_waitcnt vmcnt(0)
	v_add_co_u32_e32 v0, vcc, s22, v26
	v_addc_co_u32_e32 v1, vcc, v27, v1, vcc
	s_and_saveexec_b64 s[20:21], s[0:1]
	s_cbranch_execz .LBB5_825
; %bb.824:                              ;   in Loop: Header=BB5_3 Depth=1
	v_mov_b32_e32 v4, s16
	v_mov_b32_e32 v5, s17
	global_store_dwordx4 v[0:1], v[4:7], off offset:8
.LBB5_825:                              ;   in Loop: Header=BB5_3 Depth=1
	s_or_b64 exec, exec, s[20:21]
	s_lshl_b64 s[16:17], s[18:19], 12
	v_mov_b32_e32 v2, s17
	v_add_co_u32_e32 v11, vcc, s16, v28
	v_addc_co_u32_e32 v28, vcc, v29, v2, vcc
	v_and_or_b32 v22, v22, s30, 34
	v_mov_b32_e32 v24, v45
	v_mov_b32_e32 v25, v3
	v_readfirstlane_b32 s16, v11
	v_readfirstlane_b32 s17, v28
	s_nop 4
	global_store_dwordx4 v53, v[22:25], s[16:17]
	s_nop 0
	v_mov_b32_e32 v23, s11
	v_mov_b32_e32 v22, s10
	;; [unrolled: 1-line block ×4, first 2 shown]
	global_store_dwordx4 v53, v[20:23], s[16:17] offset:16
	global_store_dwordx4 v53, v[20:23], s[16:17] offset:32
	;; [unrolled: 1-line block ×3, first 2 shown]
	s_and_saveexec_b64 s[16:17], s[0:1]
	s_cbranch_execz .LBB5_833
; %bb.826:                              ;   in Loop: Header=BB5_3 Depth=1
	global_load_dwordx2 v[24:25], v3, s[2:3] offset:32 glc
	global_load_dwordx2 v[4:5], v3, s[2:3] offset:40
	v_mov_b32_e32 v22, s14
	v_mov_b32_e32 v23, s15
	s_waitcnt vmcnt(0)
	v_readfirstlane_b32 s18, v4
	v_readfirstlane_b32 s19, v5
	s_and_b64 s[18:19], s[18:19], s[14:15]
	s_mul_i32 s19, s19, 24
	s_mul_hi_u32 s20, s18, 24
	s_mul_i32 s18, s18, 24
	s_add_i32 s19, s20, s19
	v_mov_b32_e32 v2, s19
	v_add_co_u32_e32 v4, vcc, s18, v26
	v_addc_co_u32_e32 v5, vcc, v27, v2, vcc
	global_store_dwordx2 v[4:5], v[24:25], off
	s_waitcnt vmcnt(0)
	global_atomic_cmpswap_x2 v[22:23], v3, v[22:25], s[2:3] offset:32 glc
	s_waitcnt vmcnt(0)
	v_cmp_ne_u64_e32 vcc, v[22:23], v[24:25]
	s_and_saveexec_b64 s[18:19], vcc
	s_cbranch_execz .LBB5_829
; %bb.827:                              ;   in Loop: Header=BB5_3 Depth=1
	s_mov_b64 s[20:21], 0
.LBB5_828:                              ;   Parent Loop BB5_3 Depth=1
                                        ; =>  This Inner Loop Header: Depth=2
	s_sleep 1
	global_store_dwordx2 v[4:5], v[22:23], off
	v_mov_b32_e32 v20, s14
	v_mov_b32_e32 v21, s15
	s_waitcnt vmcnt(0)
	global_atomic_cmpswap_x2 v[9:10], v3, v[20:23], s[2:3] offset:32 glc
	s_waitcnt vmcnt(0)
	v_cmp_eq_u64_e32 vcc, v[9:10], v[22:23]
	v_mov_b32_e32 v23, v10
	s_or_b64 s[20:21], vcc, s[20:21]
	v_mov_b32_e32 v22, v9
	s_andn2_b64 exec, exec, s[20:21]
	s_cbranch_execnz .LBB5_828
.LBB5_829:                              ;   in Loop: Header=BB5_3 Depth=1
	s_or_b64 exec, exec, s[18:19]
	global_load_dwordx2 v[4:5], v3, s[2:3] offset:16
	s_mov_b64 s[20:21], exec
	v_mbcnt_lo_u32_b32 v2, s20, 0
	v_mbcnt_hi_u32_b32 v2, s21, v2
	v_cmp_eq_u32_e32 vcc, 0, v2
	s_and_saveexec_b64 s[18:19], vcc
	s_cbranch_execz .LBB5_831
; %bb.830:                              ;   in Loop: Header=BB5_3 Depth=1
	s_bcnt1_i32_b64 s20, s[20:21]
	v_mov_b32_e32 v2, s20
	s_waitcnt vmcnt(0)
	global_atomic_add_x2 v[4:5], v[2:3], off offset:8
.LBB5_831:                              ;   in Loop: Header=BB5_3 Depth=1
	s_or_b64 exec, exec, s[18:19]
	s_waitcnt vmcnt(0)
	global_load_dwordx2 v[9:10], v[4:5], off offset:16
	s_waitcnt vmcnt(0)
	v_cmp_eq_u64_e32 vcc, 0, v[9:10]
	s_cbranch_vccnz .LBB5_833
; %bb.832:                              ;   in Loop: Header=BB5_3 Depth=1
	global_load_dword v2, v[4:5], off offset:24
	s_waitcnt vmcnt(0)
	v_readfirstlane_b32 s18, v2
	s_and_b32 m0, s18, 0xffffff
	global_store_dwordx2 v[9:10], v[2:3], off
	s_sendmsg sendmsg(MSG_INTERRUPT)
.LBB5_833:                              ;   in Loop: Header=BB5_3 Depth=1
	s_or_b64 exec, exec, s[16:17]
	v_add_co_u32_e32 v4, vcc, v11, v53
	v_addc_co_u32_e32 v5, vcc, 0, v28, vcc
	s_branch .LBB5_837
.LBB5_834:                              ;   in Loop: Header=BB5_837 Depth=2
	s_or_b64 exec, exec, s[16:17]
	v_readfirstlane_b32 s16, v2
	s_cmp_eq_u32 s16, 0
	s_cbranch_scc1 .LBB5_836
; %bb.835:                              ;   in Loop: Header=BB5_837 Depth=2
	s_sleep 1
	s_cbranch_execnz .LBB5_837
	s_branch .LBB5_839
.LBB5_836:                              ;   in Loop: Header=BB5_3 Depth=1
	s_branch .LBB5_839
.LBB5_837:                              ;   Parent Loop BB5_3 Depth=1
                                        ; =>  This Inner Loop Header: Depth=2
	v_mov_b32_e32 v2, 1
	s_and_saveexec_b64 s[16:17], s[0:1]
	s_cbranch_execz .LBB5_834
; %bb.838:                              ;   in Loop: Header=BB5_837 Depth=2
	global_load_dword v2, v[0:1], off offset:20 glc
	s_waitcnt vmcnt(0)
	buffer_wbinvl1_vol
	v_and_b32_e32 v2, 1, v2
	s_branch .LBB5_834
.LBB5_839:                              ;   in Loop: Header=BB5_3 Depth=1
	global_load_dwordx2 v[45:46], v[4:5], off
	s_and_saveexec_b64 s[16:17], s[0:1]
	s_cbranch_execz .LBB5_843
; %bb.840:                              ;   in Loop: Header=BB5_3 Depth=1
	global_load_dwordx2 v[0:1], v3, s[2:3] offset:40
	global_load_dwordx2 v[24:25], v3, s[2:3] offset:24 glc
	global_load_dwordx2 v[4:5], v3, s[2:3]
	s_waitcnt vmcnt(2)
	v_readfirstlane_b32 s18, v0
	v_readfirstlane_b32 s19, v1
	s_add_u32 s20, s18, 1
	s_addc_u32 s21, s19, 0
	s_add_u32 s0, s20, s14
	s_addc_u32 s1, s21, s15
	s_cmp_eq_u64 s[0:1], 0
	s_cselect_b32 s1, s21, s1
	s_cselect_b32 s0, s20, s0
	s_and_b64 s[14:15], s[0:1], s[18:19]
	s_mul_i32 s15, s15, 24
	s_mul_hi_u32 s18, s14, 24
	s_mul_i32 s14, s14, 24
	s_add_i32 s15, s18, s15
	v_mov_b32_e32 v1, s15
	s_waitcnt vmcnt(0)
	v_add_co_u32_e32 v0, vcc, s14, v4
	v_addc_co_u32_e32 v1, vcc, v5, v1, vcc
	v_mov_b32_e32 v22, s0
	global_store_dwordx2 v[0:1], v[24:25], off
	v_mov_b32_e32 v23, s1
	s_waitcnt vmcnt(0)
	global_atomic_cmpswap_x2 v[22:23], v3, v[22:25], s[2:3] offset:24 glc
	s_waitcnt vmcnt(0)
	v_cmp_ne_u64_e32 vcc, v[22:23], v[24:25]
	s_and_b64 exec, exec, vcc
	s_cbranch_execz .LBB5_843
; %bb.841:                              ;   in Loop: Header=BB5_3 Depth=1
	s_mov_b64 s[14:15], 0
.LBB5_842:                              ;   Parent Loop BB5_3 Depth=1
                                        ; =>  This Inner Loop Header: Depth=2
	s_sleep 1
	global_store_dwordx2 v[0:1], v[22:23], off
	v_mov_b32_e32 v20, s0
	v_mov_b32_e32 v21, s1
	s_waitcnt vmcnt(0)
	global_atomic_cmpswap_x2 v[4:5], v3, v[20:23], s[2:3] offset:24 glc
	s_waitcnt vmcnt(0)
	v_cmp_eq_u64_e32 vcc, v[4:5], v[22:23]
	v_mov_b32_e32 v23, v5
	s_or_b64 s[14:15], vcc, s[14:15]
	v_mov_b32_e32 v22, v4
	s_andn2_b64 exec, exec, s[14:15]
	s_cbranch_execnz .LBB5_842
.LBB5_843:                              ;   in Loop: Header=BB5_3 Depth=1
	s_or_b64 exec, exec, s[16:17]
	ds_read_b32 v2, v51
	v_readfirstlane_b32 s0, v47
	v_mov_b32_e32 v0, 0
	v_mov_b32_e32 v1, 0
	v_cmp_eq_u32_e64 s[0:1], s0, v47
	s_waitcnt vmcnt(0) lgkmcnt(0)
	v_and_b32_e32 v46, 0xffff, v2
	ds_write_b32 v48, v46
	s_and_saveexec_b64 s[14:15], s[0:1]
	s_cbranch_execz .LBB5_849
; %bb.844:                              ;   in Loop: Header=BB5_3 Depth=1
	global_load_dwordx2 v[22:23], v3, s[2:3] offset:24 glc
	s_waitcnt vmcnt(0)
	buffer_wbinvl1_vol
	global_load_dwordx2 v[0:1], v3, s[2:3] offset:40
	global_load_dwordx2 v[4:5], v3, s[2:3]
	s_waitcnt vmcnt(1)
	v_and_b32_e32 v0, v0, v22
	v_and_b32_e32 v1, v1, v23
	v_mul_lo_u32 v1, v1, 24
	v_mul_hi_u32 v2, v0, 24
	v_mul_lo_u32 v0, v0, 24
	v_add_u32_e32 v1, v2, v1
	s_waitcnt vmcnt(0)
	v_add_co_u32_e32 v0, vcc, v4, v0
	v_addc_co_u32_e32 v1, vcc, v5, v1, vcc
	global_load_dwordx2 v[20:21], v[0:1], off glc
	s_waitcnt vmcnt(0)
	global_atomic_cmpswap_x2 v[0:1], v3, v[20:23], s[2:3] offset:24 glc
	s_waitcnt vmcnt(0)
	buffer_wbinvl1_vol
	v_cmp_ne_u64_e32 vcc, v[0:1], v[22:23]
	s_and_saveexec_b64 s[16:17], vcc
	s_cbranch_execz .LBB5_848
; %bb.845:                              ;   in Loop: Header=BB5_3 Depth=1
	s_mov_b64 s[18:19], 0
.LBB5_846:                              ;   Parent Loop BB5_3 Depth=1
                                        ; =>  This Inner Loop Header: Depth=2
	s_sleep 1
	global_load_dwordx2 v[4:5], v3, s[2:3] offset:40
	global_load_dwordx2 v[9:10], v3, s[2:3]
	v_mov_b32_e32 v23, v1
	v_mov_b32_e32 v22, v0
	s_waitcnt vmcnt(1)
	v_and_b32_e32 v0, v4, v22
	s_waitcnt vmcnt(0)
	v_mad_u64_u32 v[0:1], s[20:21], v0, 24, v[9:10]
	v_and_b32_e32 v2, v5, v23
	v_mad_u64_u32 v[1:2], s[20:21], v2, 24, v[1:2]
	global_load_dwordx2 v[20:21], v[0:1], off glc
	s_waitcnt vmcnt(0)
	global_atomic_cmpswap_x2 v[0:1], v3, v[20:23], s[2:3] offset:24 glc
	s_waitcnt vmcnt(0)
	buffer_wbinvl1_vol
	v_cmp_eq_u64_e32 vcc, v[0:1], v[22:23]
	s_or_b64 s[18:19], vcc, s[18:19]
	s_andn2_b64 exec, exec, s[18:19]
	s_cbranch_execnz .LBB5_846
; %bb.847:                              ;   in Loop: Header=BB5_3 Depth=1
	s_or_b64 exec, exec, s[18:19]
.LBB5_848:                              ;   in Loop: Header=BB5_3 Depth=1
	s_or_b64 exec, exec, s[16:17]
.LBB5_849:                              ;   in Loop: Header=BB5_3 Depth=1
	s_or_b64 exec, exec, s[14:15]
	global_load_dwordx2 v[4:5], v3, s[2:3] offset:40
	global_load_dwordx4 v[20:23], v3, s[2:3]
	v_readfirstlane_b32 s15, v1
	v_readfirstlane_b32 s14, v0
	s_mov_b64 s[16:17], exec
	s_waitcnt vmcnt(1)
	v_readfirstlane_b32 s18, v4
	v_readfirstlane_b32 s19, v5
	s_and_b64 s[18:19], s[18:19], s[14:15]
	s_mul_i32 s20, s19, 24
	s_mul_hi_u32 s21, s18, 24
	s_mul_i32 s22, s18, 24
	s_add_i32 s20, s21, s20
	v_mov_b32_e32 v1, s20
	s_waitcnt vmcnt(0)
	v_add_co_u32_e32 v0, vcc, s22, v20
	v_addc_co_u32_e32 v1, vcc, v21, v1, vcc
	s_and_saveexec_b64 s[20:21], s[0:1]
	s_cbranch_execz .LBB5_851
; %bb.850:                              ;   in Loop: Header=BB5_3 Depth=1
	v_mov_b32_e32 v4, s16
	v_mov_b32_e32 v5, s17
	global_store_dwordx4 v[0:1], v[4:7], off offset:8
.LBB5_851:                              ;   in Loop: Header=BB5_3 Depth=1
	s_or_b64 exec, exec, s[20:21]
	s_lshl_b64 s[16:17], s[18:19], 12
	v_mov_b32_e32 v2, s17
	v_add_co_u32_e32 v24, vcc, s16, v22
	v_addc_co_u32_e32 v25, vcc, v23, v2, vcc
	v_mov_b32_e32 v29, s11
	v_mov_b32_e32 v9, v3
	;; [unrolled: 1-line block ×4, first 2 shown]
	v_readfirstlane_b32 s16, v24
	v_readfirstlane_b32 s17, v25
	v_mov_b32_e32 v28, s10
	v_mov_b32_e32 v27, s9
	;; [unrolled: 1-line block ×3, first 2 shown]
	s_nop 1
	global_store_dwordx4 v53, v[8:11], s[16:17]
	global_store_dwordx4 v53, v[26:29], s[16:17] offset:16
	global_store_dwordx4 v53, v[26:29], s[16:17] offset:32
	;; [unrolled: 1-line block ×3, first 2 shown]
	s_and_saveexec_b64 s[16:17], s[0:1]
	s_cbranch_execz .LBB5_859
; %bb.852:                              ;   in Loop: Header=BB5_3 Depth=1
	global_load_dwordx2 v[28:29], v3, s[2:3] offset:32 glc
	global_load_dwordx2 v[4:5], v3, s[2:3] offset:40
	v_mov_b32_e32 v26, s14
	v_mov_b32_e32 v27, s15
	s_waitcnt vmcnt(0)
	v_readfirstlane_b32 s18, v4
	v_readfirstlane_b32 s19, v5
	s_and_b64 s[18:19], s[18:19], s[14:15]
	s_mul_i32 s19, s19, 24
	s_mul_hi_u32 s20, s18, 24
	s_mul_i32 s18, s18, 24
	s_add_i32 s19, s20, s19
	v_mov_b32_e32 v2, s19
	v_add_co_u32_e32 v4, vcc, s18, v20
	v_addc_co_u32_e32 v5, vcc, v21, v2, vcc
	global_store_dwordx2 v[4:5], v[28:29], off
	s_waitcnt vmcnt(0)
	global_atomic_cmpswap_x2 v[22:23], v3, v[26:29], s[2:3] offset:32 glc
	s_waitcnt vmcnt(0)
	v_cmp_ne_u64_e32 vcc, v[22:23], v[28:29]
	s_and_saveexec_b64 s[18:19], vcc
	s_cbranch_execz .LBB5_855
; %bb.853:                              ;   in Loop: Header=BB5_3 Depth=1
	s_mov_b64 s[20:21], 0
.LBB5_854:                              ;   Parent Loop BB5_3 Depth=1
                                        ; =>  This Inner Loop Header: Depth=2
	s_sleep 1
	global_store_dwordx2 v[4:5], v[22:23], off
	v_mov_b32_e32 v20, s14
	v_mov_b32_e32 v21, s15
	s_waitcnt vmcnt(0)
	global_atomic_cmpswap_x2 v[9:10], v3, v[20:23], s[2:3] offset:32 glc
	s_waitcnt vmcnt(0)
	v_cmp_eq_u64_e32 vcc, v[9:10], v[22:23]
	v_mov_b32_e32 v23, v10
	s_or_b64 s[20:21], vcc, s[20:21]
	v_mov_b32_e32 v22, v9
	s_andn2_b64 exec, exec, s[20:21]
	s_cbranch_execnz .LBB5_854
.LBB5_855:                              ;   in Loop: Header=BB5_3 Depth=1
	s_or_b64 exec, exec, s[18:19]
	global_load_dwordx2 v[4:5], v3, s[2:3] offset:16
	s_mov_b64 s[20:21], exec
	v_mbcnt_lo_u32_b32 v2, s20, 0
	v_mbcnt_hi_u32_b32 v2, s21, v2
	v_cmp_eq_u32_e32 vcc, 0, v2
	s_and_saveexec_b64 s[18:19], vcc
	s_cbranch_execz .LBB5_857
; %bb.856:                              ;   in Loop: Header=BB5_3 Depth=1
	s_bcnt1_i32_b64 s20, s[20:21]
	v_mov_b32_e32 v2, s20
	s_waitcnt vmcnt(0)
	global_atomic_add_x2 v[4:5], v[2:3], off offset:8
.LBB5_857:                              ;   in Loop: Header=BB5_3 Depth=1
	s_or_b64 exec, exec, s[18:19]
	s_waitcnt vmcnt(0)
	global_load_dwordx2 v[9:10], v[4:5], off offset:16
	s_waitcnt vmcnt(0)
	v_cmp_eq_u64_e32 vcc, 0, v[9:10]
	s_cbranch_vccnz .LBB5_859
; %bb.858:                              ;   in Loop: Header=BB5_3 Depth=1
	global_load_dword v2, v[4:5], off offset:24
	s_waitcnt vmcnt(0)
	v_readfirstlane_b32 s18, v2
	s_and_b32 m0, s18, 0xffffff
	global_store_dwordx2 v[9:10], v[2:3], off
	s_sendmsg sendmsg(MSG_INTERRUPT)
.LBB5_859:                              ;   in Loop: Header=BB5_3 Depth=1
	s_or_b64 exec, exec, s[16:17]
	v_add_co_u32_e32 v4, vcc, v24, v53
	v_addc_co_u32_e32 v5, vcc, 0, v25, vcc
	s_branch .LBB5_863
.LBB5_860:                              ;   in Loop: Header=BB5_863 Depth=2
	s_or_b64 exec, exec, s[16:17]
	v_readfirstlane_b32 s16, v2
	s_cmp_eq_u32 s16, 0
	s_cbranch_scc1 .LBB5_862
; %bb.861:                              ;   in Loop: Header=BB5_863 Depth=2
	s_sleep 1
	s_cbranch_execnz .LBB5_863
	s_branch .LBB5_865
.LBB5_862:                              ;   in Loop: Header=BB5_3 Depth=1
	s_branch .LBB5_865
.LBB5_863:                              ;   Parent Loop BB5_3 Depth=1
                                        ; =>  This Inner Loop Header: Depth=2
	v_mov_b32_e32 v2, 1
	s_and_saveexec_b64 s[16:17], s[0:1]
	s_cbranch_execz .LBB5_860
; %bb.864:                              ;   in Loop: Header=BB5_863 Depth=2
	global_load_dword v2, v[0:1], off offset:20 glc
	s_waitcnt vmcnt(0)
	buffer_wbinvl1_vol
	v_and_b32_e32 v2, 1, v2
	s_branch .LBB5_860
.LBB5_865:                              ;   in Loop: Header=BB5_3 Depth=1
	global_load_dwordx2 v[0:1], v[4:5], off
	s_and_saveexec_b64 s[16:17], s[0:1]
	s_cbranch_execz .LBB5_869
; %bb.866:                              ;   in Loop: Header=BB5_3 Depth=1
	global_load_dwordx2 v[4:5], v3, s[2:3] offset:40
	global_load_dwordx2 v[24:25], v3, s[2:3] offset:24 glc
	global_load_dwordx2 v[9:10], v3, s[2:3]
	s_waitcnt vmcnt(2)
	v_readfirstlane_b32 s18, v4
	v_readfirstlane_b32 s19, v5
	s_add_u32 s20, s18, 1
	s_addc_u32 s21, s19, 0
	s_add_u32 s0, s20, s14
	s_addc_u32 s1, s21, s15
	s_cmp_eq_u64 s[0:1], 0
	s_cselect_b32 s1, s21, s1
	s_cselect_b32 s0, s20, s0
	s_and_b64 s[14:15], s[0:1], s[18:19]
	s_mul_i32 s15, s15, 24
	s_mul_hi_u32 s18, s14, 24
	s_mul_i32 s14, s14, 24
	s_add_i32 s15, s18, s15
	v_mov_b32_e32 v2, s15
	s_waitcnt vmcnt(0)
	v_add_co_u32_e32 v4, vcc, s14, v9
	v_addc_co_u32_e32 v5, vcc, v10, v2, vcc
	v_mov_b32_e32 v22, s0
	global_store_dwordx2 v[4:5], v[24:25], off
	v_mov_b32_e32 v23, s1
	s_waitcnt vmcnt(0)
	global_atomic_cmpswap_x2 v[22:23], v3, v[22:25], s[2:3] offset:24 glc
	s_waitcnt vmcnt(0)
	v_cmp_ne_u64_e32 vcc, v[22:23], v[24:25]
	s_and_b64 exec, exec, vcc
	s_cbranch_execz .LBB5_869
; %bb.867:                              ;   in Loop: Header=BB5_3 Depth=1
	s_mov_b64 s[14:15], 0
.LBB5_868:                              ;   Parent Loop BB5_3 Depth=1
                                        ; =>  This Inner Loop Header: Depth=2
	s_sleep 1
	global_store_dwordx2 v[4:5], v[22:23], off
	v_mov_b32_e32 v20, s0
	v_mov_b32_e32 v21, s1
	s_waitcnt vmcnt(0)
	global_atomic_cmpswap_x2 v[9:10], v3, v[20:23], s[2:3] offset:24 glc
	s_waitcnt vmcnt(0)
	v_cmp_eq_u64_e32 vcc, v[9:10], v[22:23]
	v_mov_b32_e32 v23, v10
	s_or_b64 s[14:15], vcc, s[14:15]
	v_mov_b32_e32 v22, v9
	s_andn2_b64 exec, exec, s[14:15]
	s_cbranch_execnz .LBB5_868
.LBB5_869:                              ;   in Loop: Header=BB5_3 Depth=1
	s_or_b64 exec, exec, s[16:17]
	s_and_b64 vcc, exec, s[4:5]
	s_cbranch_vccz .LBB5_1041
; %bb.870:                              ;   in Loop: Header=BB5_3 Depth=1
	s_waitcnt vmcnt(0)
	v_and_b32_e32 v11, 2, v0
	v_and_b32_e32 v20, -3, v0
	v_mov_b32_e32 v21, v1
	s_mov_b64 s[16:17], 6
	s_getpc_b64 s[14:15]
	s_add_u32 s14, s14, .str.7@rel32@lo+4
	s_addc_u32 s15, s15, .str.7@rel32@hi+12
	s_branch .LBB5_872
.LBB5_871:                              ;   in Loop: Header=BB5_872 Depth=2
	s_or_b64 exec, exec, s[22:23]
	s_sub_u32 s16, s16, s18
	s_subb_u32 s17, s17, s19
	s_add_u32 s14, s14, s18
	s_addc_u32 s15, s15, s19
	s_cmp_lg_u64 s[16:17], 0
	s_cbranch_scc0 .LBB5_954
.LBB5_872:                              ;   Parent Loop BB5_3 Depth=1
                                        ; =>  This Loop Header: Depth=2
                                        ;       Child Loop BB5_875 Depth 3
                                        ;       Child Loop BB5_883 Depth 3
	;; [unrolled: 1-line block ×11, first 2 shown]
	v_cmp_lt_u64_e64 s[0:1], s[16:17], 56
	v_cmp_gt_u64_e64 s[20:21], s[16:17], 7
	s_and_b64 s[0:1], s[0:1], exec
	s_cselect_b32 s19, s17, 0
	s_cselect_b32 s18, s16, 56
	s_add_u32 s0, s14, 8
	s_addc_u32 s1, s15, 0
	s_and_b64 vcc, exec, s[20:21]
	s_cbranch_vccnz .LBB5_876
; %bb.873:                              ;   in Loop: Header=BB5_872 Depth=2
	s_cmp_eq_u64 s[16:17], 0
	s_cbranch_scc1 .LBB5_877
; %bb.874:                              ;   in Loop: Header=BB5_872 Depth=2
	v_mov_b32_e32 v22, 0
	s_lshl_b64 s[0:1], s[18:19], 3
	s_mov_b64 s[20:21], 0
	v_mov_b32_e32 v23, 0
	s_mov_b64 s[22:23], s[14:15]
.LBB5_875:                              ;   Parent Loop BB5_3 Depth=1
                                        ;     Parent Loop BB5_872 Depth=2
                                        ; =>    This Inner Loop Header: Depth=3
	global_load_ubyte v2, v3, s[22:23]
	s_waitcnt vmcnt(0)
	v_and_b32_e32 v2, 0xffff, v2
	v_lshlrev_b64 v[4:5], s20, v[2:3]
	s_add_u32 s20, s20, 8
	s_addc_u32 s21, s21, 0
	s_add_u32 s22, s22, 1
	s_addc_u32 s23, s23, 0
	v_or_b32_e32 v22, v4, v22
	s_cmp_lg_u32 s0, s20
	v_or_b32_e32 v23, v5, v23
	s_cbranch_scc1 .LBB5_875
	s_branch .LBB5_878
.LBB5_876:                              ;   in Loop: Header=BB5_872 Depth=2
	s_mov_b32 s24, 0
	s_branch .LBB5_879
.LBB5_877:                              ;   in Loop: Header=BB5_872 Depth=2
	v_mov_b32_e32 v22, 0
	v_mov_b32_e32 v23, 0
.LBB5_878:                              ;   in Loop: Header=BB5_872 Depth=2
	s_mov_b64 s[0:1], s[14:15]
	s_mov_b32 s24, 0
	s_cbranch_execnz .LBB5_880
.LBB5_879:                              ;   in Loop: Header=BB5_872 Depth=2
	global_load_dwordx2 v[22:23], v3, s[14:15]
	s_add_i32 s24, s18, -8
.LBB5_880:                              ;   in Loop: Header=BB5_872 Depth=2
	s_add_u32 s20, s0, 8
	s_addc_u32 s21, s1, 0
	s_cmp_gt_u32 s24, 7
	s_cbranch_scc1 .LBB5_884
; %bb.881:                              ;   in Loop: Header=BB5_872 Depth=2
	s_cmp_eq_u32 s24, 0
	s_cbranch_scc1 .LBB5_885
; %bb.882:                              ;   in Loop: Header=BB5_872 Depth=2
	v_mov_b32_e32 v24, 0
	s_mov_b64 s[20:21], 0
	v_mov_b32_e32 v25, 0
	s_mov_b64 s[22:23], 0
.LBB5_883:                              ;   Parent Loop BB5_3 Depth=1
                                        ;     Parent Loop BB5_872 Depth=2
                                        ; =>    This Inner Loop Header: Depth=3
	s_add_u32 s26, s0, s22
	s_addc_u32 s27, s1, s23
	global_load_ubyte v2, v3, s[26:27]
	s_add_u32 s22, s22, 1
	s_addc_u32 s23, s23, 0
	s_waitcnt vmcnt(0)
	v_and_b32_e32 v2, 0xffff, v2
	v_lshlrev_b64 v[4:5], s20, v[2:3]
	s_add_u32 s20, s20, 8
	s_addc_u32 s21, s21, 0
	v_or_b32_e32 v24, v4, v24
	s_cmp_lg_u32 s24, s22
	v_or_b32_e32 v25, v5, v25
	s_cbranch_scc1 .LBB5_883
	s_branch .LBB5_886
.LBB5_884:                              ;   in Loop: Header=BB5_872 Depth=2
                                        ; implicit-def: $vgpr24_vgpr25
	s_mov_b32 s25, 0
	s_branch .LBB5_887
.LBB5_885:                              ;   in Loop: Header=BB5_872 Depth=2
	v_mov_b32_e32 v24, 0
	v_mov_b32_e32 v25, 0
.LBB5_886:                              ;   in Loop: Header=BB5_872 Depth=2
	s_mov_b64 s[20:21], s[0:1]
	s_mov_b32 s25, 0
	s_cbranch_execnz .LBB5_888
.LBB5_887:                              ;   in Loop: Header=BB5_872 Depth=2
	global_load_dwordx2 v[24:25], v3, s[0:1]
	s_add_i32 s25, s24, -8
.LBB5_888:                              ;   in Loop: Header=BB5_872 Depth=2
	s_add_u32 s0, s20, 8
	s_addc_u32 s1, s21, 0
	s_cmp_gt_u32 s25, 7
	s_cbranch_scc1 .LBB5_892
; %bb.889:                              ;   in Loop: Header=BB5_872 Depth=2
	s_cmp_eq_u32 s25, 0
	s_cbranch_scc1 .LBB5_893
; %bb.890:                              ;   in Loop: Header=BB5_872 Depth=2
	v_mov_b32_e32 v26, 0
	s_mov_b64 s[0:1], 0
	v_mov_b32_e32 v27, 0
	s_mov_b64 s[22:23], 0
.LBB5_891:                              ;   Parent Loop BB5_3 Depth=1
                                        ;     Parent Loop BB5_872 Depth=2
                                        ; =>    This Inner Loop Header: Depth=3
	s_add_u32 s26, s20, s22
	s_addc_u32 s27, s21, s23
	global_load_ubyte v2, v3, s[26:27]
	s_add_u32 s22, s22, 1
	s_addc_u32 s23, s23, 0
	s_waitcnt vmcnt(0)
	v_and_b32_e32 v2, 0xffff, v2
	v_lshlrev_b64 v[4:5], s0, v[2:3]
	s_add_u32 s0, s0, 8
	s_addc_u32 s1, s1, 0
	v_or_b32_e32 v26, v4, v26
	s_cmp_lg_u32 s25, s22
	v_or_b32_e32 v27, v5, v27
	s_cbranch_scc1 .LBB5_891
	s_branch .LBB5_894
.LBB5_892:                              ;   in Loop: Header=BB5_872 Depth=2
	s_mov_b32 s24, 0
	s_branch .LBB5_895
.LBB5_893:                              ;   in Loop: Header=BB5_872 Depth=2
	v_mov_b32_e32 v26, 0
	v_mov_b32_e32 v27, 0
.LBB5_894:                              ;   in Loop: Header=BB5_872 Depth=2
	s_mov_b64 s[0:1], s[20:21]
	s_mov_b32 s24, 0
	s_cbranch_execnz .LBB5_896
.LBB5_895:                              ;   in Loop: Header=BB5_872 Depth=2
	global_load_dwordx2 v[26:27], v3, s[20:21]
	s_add_i32 s24, s25, -8
.LBB5_896:                              ;   in Loop: Header=BB5_872 Depth=2
	s_add_u32 s20, s0, 8
	s_addc_u32 s21, s1, 0
	s_cmp_gt_u32 s24, 7
	s_cbranch_scc1 .LBB5_900
; %bb.897:                              ;   in Loop: Header=BB5_872 Depth=2
	s_cmp_eq_u32 s24, 0
	s_cbranch_scc1 .LBB5_901
; %bb.898:                              ;   in Loop: Header=BB5_872 Depth=2
	v_mov_b32_e32 v28, 0
	s_mov_b64 s[20:21], 0
	v_mov_b32_e32 v29, 0
	s_mov_b64 s[22:23], 0
.LBB5_899:                              ;   Parent Loop BB5_3 Depth=1
                                        ;     Parent Loop BB5_872 Depth=2
                                        ; =>    This Inner Loop Header: Depth=3
	s_add_u32 s26, s0, s22
	s_addc_u32 s27, s1, s23
	global_load_ubyte v2, v3, s[26:27]
	s_add_u32 s22, s22, 1
	s_addc_u32 s23, s23, 0
	s_waitcnt vmcnt(0)
	v_and_b32_e32 v2, 0xffff, v2
	v_lshlrev_b64 v[4:5], s20, v[2:3]
	s_add_u32 s20, s20, 8
	s_addc_u32 s21, s21, 0
	v_or_b32_e32 v28, v4, v28
	s_cmp_lg_u32 s24, s22
	v_or_b32_e32 v29, v5, v29
	s_cbranch_scc1 .LBB5_899
	s_branch .LBB5_902
.LBB5_900:                              ;   in Loop: Header=BB5_872 Depth=2
                                        ; implicit-def: $vgpr28_vgpr29
	s_mov_b32 s25, 0
	s_branch .LBB5_903
.LBB5_901:                              ;   in Loop: Header=BB5_872 Depth=2
	v_mov_b32_e32 v28, 0
	v_mov_b32_e32 v29, 0
.LBB5_902:                              ;   in Loop: Header=BB5_872 Depth=2
	s_mov_b64 s[20:21], s[0:1]
	s_mov_b32 s25, 0
	s_cbranch_execnz .LBB5_904
.LBB5_903:                              ;   in Loop: Header=BB5_872 Depth=2
	global_load_dwordx2 v[28:29], v3, s[0:1]
	s_add_i32 s25, s24, -8
.LBB5_904:                              ;   in Loop: Header=BB5_872 Depth=2
	s_add_u32 s0, s20, 8
	s_addc_u32 s1, s21, 0
	s_cmp_gt_u32 s25, 7
	s_cbranch_scc1 .LBB5_908
; %bb.905:                              ;   in Loop: Header=BB5_872 Depth=2
	s_cmp_eq_u32 s25, 0
	s_cbranch_scc1 .LBB5_909
; %bb.906:                              ;   in Loop: Header=BB5_872 Depth=2
	v_mov_b32_e32 v30, 0
	s_mov_b64 s[0:1], 0
	v_mov_b32_e32 v31, 0
	s_mov_b64 s[22:23], 0
.LBB5_907:                              ;   Parent Loop BB5_3 Depth=1
                                        ;     Parent Loop BB5_872 Depth=2
                                        ; =>    This Inner Loop Header: Depth=3
	s_add_u32 s26, s20, s22
	s_addc_u32 s27, s21, s23
	global_load_ubyte v2, v3, s[26:27]
	s_add_u32 s22, s22, 1
	s_addc_u32 s23, s23, 0
	s_waitcnt vmcnt(0)
	v_and_b32_e32 v2, 0xffff, v2
	v_lshlrev_b64 v[4:5], s0, v[2:3]
	s_add_u32 s0, s0, 8
	s_addc_u32 s1, s1, 0
	v_or_b32_e32 v30, v4, v30
	s_cmp_lg_u32 s25, s22
	v_or_b32_e32 v31, v5, v31
	s_cbranch_scc1 .LBB5_907
	s_branch .LBB5_910
.LBB5_908:                              ;   in Loop: Header=BB5_872 Depth=2
	s_mov_b32 s24, 0
	s_branch .LBB5_911
.LBB5_909:                              ;   in Loop: Header=BB5_872 Depth=2
	v_mov_b32_e32 v30, 0
	v_mov_b32_e32 v31, 0
.LBB5_910:                              ;   in Loop: Header=BB5_872 Depth=2
	s_mov_b64 s[0:1], s[20:21]
	s_mov_b32 s24, 0
	s_cbranch_execnz .LBB5_912
.LBB5_911:                              ;   in Loop: Header=BB5_872 Depth=2
	global_load_dwordx2 v[30:31], v3, s[20:21]
	s_add_i32 s24, s25, -8
.LBB5_912:                              ;   in Loop: Header=BB5_872 Depth=2
	s_add_u32 s20, s0, 8
	s_addc_u32 s21, s1, 0
	s_cmp_gt_u32 s24, 7
	s_cbranch_scc1 .LBB5_916
; %bb.913:                              ;   in Loop: Header=BB5_872 Depth=2
	s_cmp_eq_u32 s24, 0
	s_cbranch_scc1 .LBB5_917
; %bb.914:                              ;   in Loop: Header=BB5_872 Depth=2
	v_mov_b32_e32 v32, 0
	s_mov_b64 s[20:21], 0
	v_mov_b32_e32 v33, 0
	s_mov_b64 s[22:23], 0
.LBB5_915:                              ;   Parent Loop BB5_3 Depth=1
                                        ;     Parent Loop BB5_872 Depth=2
                                        ; =>    This Inner Loop Header: Depth=3
	s_add_u32 s26, s0, s22
	s_addc_u32 s27, s1, s23
	global_load_ubyte v2, v3, s[26:27]
	s_add_u32 s22, s22, 1
	s_addc_u32 s23, s23, 0
	s_waitcnt vmcnt(0)
	v_and_b32_e32 v2, 0xffff, v2
	v_lshlrev_b64 v[4:5], s20, v[2:3]
	s_add_u32 s20, s20, 8
	s_addc_u32 s21, s21, 0
	v_or_b32_e32 v32, v4, v32
	s_cmp_lg_u32 s24, s22
	v_or_b32_e32 v33, v5, v33
	s_cbranch_scc1 .LBB5_915
	s_branch .LBB5_918
.LBB5_916:                              ;   in Loop: Header=BB5_872 Depth=2
                                        ; implicit-def: $vgpr32_vgpr33
	s_mov_b32 s25, 0
	s_branch .LBB5_919
.LBB5_917:                              ;   in Loop: Header=BB5_872 Depth=2
	v_mov_b32_e32 v32, 0
	v_mov_b32_e32 v33, 0
.LBB5_918:                              ;   in Loop: Header=BB5_872 Depth=2
	s_mov_b64 s[20:21], s[0:1]
	s_mov_b32 s25, 0
	s_cbranch_execnz .LBB5_920
.LBB5_919:                              ;   in Loop: Header=BB5_872 Depth=2
	global_load_dwordx2 v[32:33], v3, s[0:1]
	s_add_i32 s25, s24, -8
.LBB5_920:                              ;   in Loop: Header=BB5_872 Depth=2
	s_cmp_gt_u32 s25, 7
	s_cbranch_scc1 .LBB5_924
; %bb.921:                              ;   in Loop: Header=BB5_872 Depth=2
	s_cmp_eq_u32 s25, 0
	s_cbranch_scc1 .LBB5_925
; %bb.922:                              ;   in Loop: Header=BB5_872 Depth=2
	v_mov_b32_e32 v34, 0
	s_mov_b64 s[0:1], 0
	v_mov_b32_e32 v35, 0
	s_mov_b64 s[22:23], s[20:21]
.LBB5_923:                              ;   Parent Loop BB5_3 Depth=1
                                        ;     Parent Loop BB5_872 Depth=2
                                        ; =>    This Inner Loop Header: Depth=3
	global_load_ubyte v2, v3, s[22:23]
	s_add_i32 s25, s25, -1
	s_waitcnt vmcnt(0)
	v_and_b32_e32 v2, 0xffff, v2
	v_lshlrev_b64 v[4:5], s0, v[2:3]
	s_add_u32 s0, s0, 8
	s_addc_u32 s1, s1, 0
	s_add_u32 s22, s22, 1
	s_addc_u32 s23, s23, 0
	v_or_b32_e32 v34, v4, v34
	s_cmp_lg_u32 s25, 0
	v_or_b32_e32 v35, v5, v35
	s_cbranch_scc1 .LBB5_923
	s_branch .LBB5_926
.LBB5_924:                              ;   in Loop: Header=BB5_872 Depth=2
	s_branch .LBB5_927
.LBB5_925:                              ;   in Loop: Header=BB5_872 Depth=2
	v_mov_b32_e32 v34, 0
	v_mov_b32_e32 v35, 0
.LBB5_926:                              ;   in Loop: Header=BB5_872 Depth=2
	s_cbranch_execnz .LBB5_928
.LBB5_927:                              ;   in Loop: Header=BB5_872 Depth=2
	global_load_dwordx2 v[34:35], v3, s[20:21]
.LBB5_928:                              ;   in Loop: Header=BB5_872 Depth=2
	v_readfirstlane_b32 s0, v47
	v_mov_b32_e32 v4, 0
	v_mov_b32_e32 v5, 0
	v_cmp_eq_u32_e64 s[0:1], s0, v47
	s_and_saveexec_b64 s[20:21], s[0:1]
	s_cbranch_execz .LBB5_934
; %bb.929:                              ;   in Loop: Header=BB5_872 Depth=2
	global_load_dwordx2 v[38:39], v3, s[2:3] offset:24 glc
	s_waitcnt vmcnt(0)
	buffer_wbinvl1_vol
	global_load_dwordx2 v[4:5], v3, s[2:3] offset:40
	global_load_dwordx2 v[9:10], v3, s[2:3]
	s_waitcnt vmcnt(1)
	v_and_b32_e32 v2, v4, v38
	v_and_b32_e32 v4, v5, v39
	v_mul_lo_u32 v4, v4, 24
	v_mul_hi_u32 v5, v2, 24
	v_mul_lo_u32 v2, v2, 24
	v_add_u32_e32 v5, v5, v4
	s_waitcnt vmcnt(0)
	v_add_co_u32_e32 v4, vcc, v9, v2
	v_addc_co_u32_e32 v5, vcc, v10, v5, vcc
	global_load_dwordx2 v[36:37], v[4:5], off glc
	s_waitcnt vmcnt(0)
	global_atomic_cmpswap_x2 v[4:5], v3, v[36:39], s[2:3] offset:24 glc
	s_waitcnt vmcnt(0)
	buffer_wbinvl1_vol
	v_cmp_ne_u64_e32 vcc, v[4:5], v[38:39]
	s_and_saveexec_b64 s[22:23], vcc
	s_cbranch_execz .LBB5_933
; %bb.930:                              ;   in Loop: Header=BB5_872 Depth=2
	s_mov_b64 s[24:25], 0
.LBB5_931:                              ;   Parent Loop BB5_3 Depth=1
                                        ;     Parent Loop BB5_872 Depth=2
                                        ; =>    This Inner Loop Header: Depth=3
	s_sleep 1
	global_load_dwordx2 v[9:10], v3, s[2:3] offset:40
	global_load_dwordx2 v[36:37], v3, s[2:3]
	v_mov_b32_e32 v39, v5
	v_mov_b32_e32 v38, v4
	s_waitcnt vmcnt(1)
	v_and_b32_e32 v2, v9, v38
	s_waitcnt vmcnt(0)
	v_mad_u64_u32 v[4:5], s[26:27], v2, 24, v[36:37]
	v_and_b32_e32 v9, v10, v39
	v_mov_b32_e32 v2, v5
	v_mad_u64_u32 v[9:10], s[26:27], v9, 24, v[2:3]
	v_mov_b32_e32 v5, v9
	global_load_dwordx2 v[36:37], v[4:5], off glc
	s_waitcnt vmcnt(0)
	global_atomic_cmpswap_x2 v[4:5], v3, v[36:39], s[2:3] offset:24 glc
	s_waitcnt vmcnt(0)
	buffer_wbinvl1_vol
	v_cmp_eq_u64_e32 vcc, v[4:5], v[38:39]
	s_or_b64 s[24:25], vcc, s[24:25]
	s_andn2_b64 exec, exec, s[24:25]
	s_cbranch_execnz .LBB5_931
; %bb.932:                              ;   in Loop: Header=BB5_872 Depth=2
	s_or_b64 exec, exec, s[24:25]
.LBB5_933:                              ;   in Loop: Header=BB5_872 Depth=2
	s_or_b64 exec, exec, s[22:23]
.LBB5_934:                              ;   in Loop: Header=BB5_872 Depth=2
	s_or_b64 exec, exec, s[20:21]
	global_load_dwordx2 v[9:10], v3, s[2:3] offset:40
	global_load_dwordx4 v[36:39], v3, s[2:3]
	v_readfirstlane_b32 s21, v5
	v_readfirstlane_b32 s20, v4
	s_mov_b64 s[22:23], exec
	s_waitcnt vmcnt(1)
	v_readfirstlane_b32 s24, v9
	v_readfirstlane_b32 s25, v10
	s_and_b64 s[24:25], s[24:25], s[20:21]
	s_mul_i32 s26, s25, 24
	s_mul_hi_u32 s27, s24, 24
	s_mul_i32 s33, s24, 24
	s_add_i32 s26, s27, s26
	v_mov_b32_e32 v2, s26
	s_waitcnt vmcnt(0)
	v_add_co_u32_e32 v9, vcc, s33, v36
	v_addc_co_u32_e32 v10, vcc, v37, v2, vcc
	s_and_saveexec_b64 s[26:27], s[0:1]
	s_cbranch_execz .LBB5_936
; %bb.935:                              ;   in Loop: Header=BB5_872 Depth=2
	v_mov_b32_e32 v4, s22
	v_mov_b32_e32 v5, s23
	global_store_dwordx4 v[9:10], v[4:7], off offset:8
.LBB5_936:                              ;   in Loop: Header=BB5_872 Depth=2
	s_or_b64 exec, exec, s[26:27]
	s_lshl_b64 s[22:23], s[24:25], 12
	v_mov_b32_e32 v2, s23
	v_add_co_u32_e32 v38, vcc, s22, v38
	v_addc_co_u32_e32 v39, vcc, v39, v2, vcc
	v_cmp_lt_u64_e64 vcc, s[16:17], 57
	s_lshl_b32 s22, s18, 2
	v_cndmask_b32_e32 v2, 0, v11, vcc
	s_add_i32 s22, s22, 28
	v_and_b32_e32 v4, 0xffffff1f, v20
	s_and_b32 s22, s22, 0x1e0
	v_or_b32_e32 v2, v4, v2
	v_or_b32_e32 v20, s22, v2
	v_readfirstlane_b32 s22, v38
	v_readfirstlane_b32 s23, v39
	s_nop 4
	global_store_dwordx4 v53, v[20:23], s[22:23]
	global_store_dwordx4 v53, v[24:27], s[22:23] offset:16
	global_store_dwordx4 v53, v[28:31], s[22:23] offset:32
	;; [unrolled: 1-line block ×3, first 2 shown]
	s_and_saveexec_b64 s[22:23], s[0:1]
	s_cbranch_execz .LBB5_944
; %bb.937:                              ;   in Loop: Header=BB5_872 Depth=2
	global_load_dwordx2 v[24:25], v3, s[2:3] offset:32 glc
	global_load_dwordx2 v[4:5], v3, s[2:3] offset:40
	v_mov_b32_e32 v22, s20
	v_mov_b32_e32 v23, s21
	s_waitcnt vmcnt(0)
	v_readfirstlane_b32 s24, v4
	v_readfirstlane_b32 s25, v5
	s_and_b64 s[24:25], s[24:25], s[20:21]
	s_mul_i32 s25, s25, 24
	s_mul_hi_u32 s26, s24, 24
	s_mul_i32 s24, s24, 24
	s_add_i32 s25, s26, s25
	v_mov_b32_e32 v2, s25
	v_add_co_u32_e32 v4, vcc, s24, v36
	v_addc_co_u32_e32 v5, vcc, v37, v2, vcc
	global_store_dwordx2 v[4:5], v[24:25], off
	s_waitcnt vmcnt(0)
	global_atomic_cmpswap_x2 v[22:23], v3, v[22:25], s[2:3] offset:32 glc
	s_waitcnt vmcnt(0)
	v_cmp_ne_u64_e32 vcc, v[22:23], v[24:25]
	s_and_saveexec_b64 s[24:25], vcc
	s_cbranch_execz .LBB5_940
; %bb.938:                              ;   in Loop: Header=BB5_872 Depth=2
	s_mov_b64 s[26:27], 0
.LBB5_939:                              ;   Parent Loop BB5_3 Depth=1
                                        ;     Parent Loop BB5_872 Depth=2
                                        ; =>    This Inner Loop Header: Depth=3
	s_sleep 1
	global_store_dwordx2 v[4:5], v[22:23], off
	v_mov_b32_e32 v20, s20
	v_mov_b32_e32 v21, s21
	s_waitcnt vmcnt(0)
	global_atomic_cmpswap_x2 v[20:21], v3, v[20:23], s[2:3] offset:32 glc
	s_waitcnt vmcnt(0)
	v_cmp_eq_u64_e32 vcc, v[20:21], v[22:23]
	v_mov_b32_e32 v23, v21
	s_or_b64 s[26:27], vcc, s[26:27]
	v_mov_b32_e32 v22, v20
	s_andn2_b64 exec, exec, s[26:27]
	s_cbranch_execnz .LBB5_939
.LBB5_940:                              ;   in Loop: Header=BB5_872 Depth=2
	s_or_b64 exec, exec, s[24:25]
	global_load_dwordx2 v[4:5], v3, s[2:3] offset:16
	s_mov_b64 s[26:27], exec
	v_mbcnt_lo_u32_b32 v2, s26, 0
	v_mbcnt_hi_u32_b32 v2, s27, v2
	v_cmp_eq_u32_e32 vcc, 0, v2
	s_and_saveexec_b64 s[24:25], vcc
	s_cbranch_execz .LBB5_942
; %bb.941:                              ;   in Loop: Header=BB5_872 Depth=2
	s_bcnt1_i32_b64 s26, s[26:27]
	v_mov_b32_e32 v2, s26
	s_waitcnt vmcnt(0)
	global_atomic_add_x2 v[4:5], v[2:3], off offset:8
.LBB5_942:                              ;   in Loop: Header=BB5_872 Depth=2
	s_or_b64 exec, exec, s[24:25]
	s_waitcnt vmcnt(0)
	global_load_dwordx2 v[20:21], v[4:5], off offset:16
	s_waitcnt vmcnt(0)
	v_cmp_eq_u64_e32 vcc, 0, v[20:21]
	s_cbranch_vccnz .LBB5_944
; %bb.943:                              ;   in Loop: Header=BB5_872 Depth=2
	global_load_dword v2, v[4:5], off offset:24
	s_waitcnt vmcnt(0)
	v_readfirstlane_b32 s24, v2
	s_and_b32 m0, s24, 0xffffff
	global_store_dwordx2 v[20:21], v[2:3], off
	s_sendmsg sendmsg(MSG_INTERRUPT)
.LBB5_944:                              ;   in Loop: Header=BB5_872 Depth=2
	s_or_b64 exec, exec, s[22:23]
	v_add_co_u32_e32 v4, vcc, v38, v53
	v_addc_co_u32_e32 v5, vcc, 0, v39, vcc
	s_branch .LBB5_948
.LBB5_945:                              ;   in Loop: Header=BB5_948 Depth=3
	s_or_b64 exec, exec, s[22:23]
	v_readfirstlane_b32 s22, v2
	s_cmp_eq_u32 s22, 0
	s_cbranch_scc1 .LBB5_947
; %bb.946:                              ;   in Loop: Header=BB5_948 Depth=3
	s_sleep 1
	s_cbranch_execnz .LBB5_948
	s_branch .LBB5_950
.LBB5_947:                              ;   in Loop: Header=BB5_872 Depth=2
	s_branch .LBB5_950
.LBB5_948:                              ;   Parent Loop BB5_3 Depth=1
                                        ;     Parent Loop BB5_872 Depth=2
                                        ; =>    This Inner Loop Header: Depth=3
	v_mov_b32_e32 v2, 1
	s_and_saveexec_b64 s[22:23], s[0:1]
	s_cbranch_execz .LBB5_945
; %bb.949:                              ;   in Loop: Header=BB5_948 Depth=3
	global_load_dword v2, v[9:10], off offset:20 glc
	s_waitcnt vmcnt(0)
	buffer_wbinvl1_vol
	v_and_b32_e32 v2, 1, v2
	s_branch .LBB5_945
.LBB5_950:                              ;   in Loop: Header=BB5_872 Depth=2
	global_load_dwordx2 v[20:21], v[4:5], off
	s_and_saveexec_b64 s[22:23], s[0:1]
	s_cbranch_execz .LBB5_871
; %bb.951:                              ;   in Loop: Header=BB5_872 Depth=2
	global_load_dwordx2 v[4:5], v3, s[2:3] offset:40
	global_load_dwordx2 v[26:27], v3, s[2:3] offset:24 glc
	global_load_dwordx2 v[9:10], v3, s[2:3]
	s_waitcnt vmcnt(2)
	v_readfirstlane_b32 s24, v4
	v_readfirstlane_b32 s25, v5
	s_add_u32 s26, s24, 1
	s_addc_u32 s27, s25, 0
	s_add_u32 s0, s26, s20
	s_addc_u32 s1, s27, s21
	s_cmp_eq_u64 s[0:1], 0
	s_cselect_b32 s1, s27, s1
	s_cselect_b32 s0, s26, s0
	s_and_b64 s[20:21], s[0:1], s[24:25]
	s_mul_i32 s21, s21, 24
	s_mul_hi_u32 s24, s20, 24
	s_mul_i32 s20, s20, 24
	s_add_i32 s21, s24, s21
	v_mov_b32_e32 v2, s21
	s_waitcnt vmcnt(0)
	v_add_co_u32_e32 v4, vcc, s20, v9
	v_addc_co_u32_e32 v5, vcc, v10, v2, vcc
	v_mov_b32_e32 v24, s0
	global_store_dwordx2 v[4:5], v[26:27], off
	v_mov_b32_e32 v25, s1
	s_waitcnt vmcnt(0)
	global_atomic_cmpswap_x2 v[24:25], v3, v[24:27], s[2:3] offset:24 glc
	s_waitcnt vmcnt(0)
	v_cmp_ne_u64_e32 vcc, v[24:25], v[26:27]
	s_and_b64 exec, exec, vcc
	s_cbranch_execz .LBB5_871
; %bb.952:                              ;   in Loop: Header=BB5_872 Depth=2
	s_mov_b64 s[20:21], 0
.LBB5_953:                              ;   Parent Loop BB5_3 Depth=1
                                        ;     Parent Loop BB5_872 Depth=2
                                        ; =>    This Inner Loop Header: Depth=3
	s_sleep 1
	global_store_dwordx2 v[4:5], v[24:25], off
	v_mov_b32_e32 v22, s0
	v_mov_b32_e32 v23, s1
	s_waitcnt vmcnt(0)
	global_atomic_cmpswap_x2 v[9:10], v3, v[22:25], s[2:3] offset:24 glc
	s_waitcnt vmcnt(0)
	v_cmp_eq_u64_e32 vcc, v[9:10], v[24:25]
	v_mov_b32_e32 v25, v10
	s_or_b64 s[20:21], vcc, s[20:21]
	v_mov_b32_e32 v24, v9
	s_andn2_b64 exec, exec, s[20:21]
	s_cbranch_execnz .LBB5_953
	s_branch .LBB5_871
.LBB5_954:                              ;   in Loop: Header=BB5_3 Depth=1
.LBB5_955:                              ;   in Loop: Header=BB5_3 Depth=1
	s_and_b64 vcc, exec, s[12:13]
	s_cbranch_vccz .LBB5_1069
.LBB5_956:                              ;   in Loop: Header=BB5_3 Depth=1
	s_waitcnt vmcnt(0)
	v_and_b32_e32 v11, 2, v20
	v_and_b32_e32 v22, -3, v20
	v_mov_b32_e32 v23, v21
	s_mov_b64 s[16:17], 45
	s_getpc_b64 s[14:15]
	s_add_u32 s14, s14, .str.6@rel32@lo+4
	s_addc_u32 s15, s15, .str.6@rel32@hi+12
	s_branch .LBB5_958
.LBB5_957:                              ;   in Loop: Header=BB5_958 Depth=2
	s_or_b64 exec, exec, s[22:23]
	s_sub_u32 s16, s16, s18
	s_subb_u32 s17, s17, s19
	s_add_u32 s14, s14, s18
	s_addc_u32 s15, s15, s19
	s_cmp_lg_u64 s[16:17], 0
	s_cbranch_scc0 .LBB5_1040
.LBB5_958:                              ;   Parent Loop BB5_3 Depth=1
                                        ; =>  This Loop Header: Depth=2
                                        ;       Child Loop BB5_961 Depth 3
                                        ;       Child Loop BB5_969 Depth 3
	;; [unrolled: 1-line block ×11, first 2 shown]
	v_cmp_lt_u64_e64 s[0:1], s[16:17], 56
	v_cmp_gt_u64_e64 s[20:21], s[16:17], 7
	s_and_b64 s[0:1], s[0:1], exec
	s_cselect_b32 s19, s17, 0
	s_cselect_b32 s18, s16, 56
	s_add_u32 s0, s14, 8
	s_addc_u32 s1, s15, 0
	s_and_b64 vcc, exec, s[20:21]
	s_cbranch_vccnz .LBB5_962
; %bb.959:                              ;   in Loop: Header=BB5_958 Depth=2
	s_cmp_eq_u64 s[16:17], 0
	s_cbranch_scc1 .LBB5_963
; %bb.960:                              ;   in Loop: Header=BB5_958 Depth=2
	v_mov_b32_e32 v24, 0
	s_lshl_b64 s[0:1], s[18:19], 3
	s_mov_b64 s[20:21], 0
	v_mov_b32_e32 v25, 0
	s_mov_b64 s[22:23], s[14:15]
.LBB5_961:                              ;   Parent Loop BB5_3 Depth=1
                                        ;     Parent Loop BB5_958 Depth=2
                                        ; =>    This Inner Loop Header: Depth=3
	global_load_ubyte v0, v3, s[22:23]
	s_waitcnt vmcnt(0)
	v_and_b32_e32 v2, 0xffff, v0
	v_lshlrev_b64 v[0:1], s20, v[2:3]
	s_add_u32 s20, s20, 8
	s_addc_u32 s21, s21, 0
	s_add_u32 s22, s22, 1
	s_addc_u32 s23, s23, 0
	v_or_b32_e32 v24, v0, v24
	s_cmp_lg_u32 s0, s20
	v_or_b32_e32 v25, v1, v25
	s_cbranch_scc1 .LBB5_961
	s_branch .LBB5_964
.LBB5_962:                              ;   in Loop: Header=BB5_958 Depth=2
	s_mov_b32 s24, 0
	s_branch .LBB5_965
.LBB5_963:                              ;   in Loop: Header=BB5_958 Depth=2
	v_mov_b32_e32 v24, 0
	v_mov_b32_e32 v25, 0
.LBB5_964:                              ;   in Loop: Header=BB5_958 Depth=2
	s_mov_b64 s[0:1], s[14:15]
	s_mov_b32 s24, 0
	s_cbranch_execnz .LBB5_966
.LBB5_965:                              ;   in Loop: Header=BB5_958 Depth=2
	global_load_dwordx2 v[24:25], v3, s[14:15]
	s_add_i32 s24, s18, -8
.LBB5_966:                              ;   in Loop: Header=BB5_958 Depth=2
	s_add_u32 s20, s0, 8
	s_addc_u32 s21, s1, 0
	s_cmp_gt_u32 s24, 7
	s_cbranch_scc1 .LBB5_970
; %bb.967:                              ;   in Loop: Header=BB5_958 Depth=2
	s_cmp_eq_u32 s24, 0
	s_cbranch_scc1 .LBB5_971
; %bb.968:                              ;   in Loop: Header=BB5_958 Depth=2
	v_mov_b32_e32 v26, 0
	s_mov_b64 s[20:21], 0
	v_mov_b32_e32 v27, 0
	s_mov_b64 s[22:23], 0
.LBB5_969:                              ;   Parent Loop BB5_3 Depth=1
                                        ;     Parent Loop BB5_958 Depth=2
                                        ; =>    This Inner Loop Header: Depth=3
	s_add_u32 s26, s0, s22
	s_addc_u32 s27, s1, s23
	global_load_ubyte v0, v3, s[26:27]
	s_add_u32 s22, s22, 1
	s_addc_u32 s23, s23, 0
	s_waitcnt vmcnt(0)
	v_and_b32_e32 v2, 0xffff, v0
	v_lshlrev_b64 v[0:1], s20, v[2:3]
	s_add_u32 s20, s20, 8
	s_addc_u32 s21, s21, 0
	v_or_b32_e32 v26, v0, v26
	s_cmp_lg_u32 s24, s22
	v_or_b32_e32 v27, v1, v27
	s_cbranch_scc1 .LBB5_969
	s_branch .LBB5_972
.LBB5_970:                              ;   in Loop: Header=BB5_958 Depth=2
                                        ; implicit-def: $vgpr26_vgpr27
	s_mov_b32 s25, 0
	s_branch .LBB5_973
.LBB5_971:                              ;   in Loop: Header=BB5_958 Depth=2
	v_mov_b32_e32 v26, 0
	v_mov_b32_e32 v27, 0
.LBB5_972:                              ;   in Loop: Header=BB5_958 Depth=2
	s_mov_b64 s[20:21], s[0:1]
	s_mov_b32 s25, 0
	s_cbranch_execnz .LBB5_974
.LBB5_973:                              ;   in Loop: Header=BB5_958 Depth=2
	global_load_dwordx2 v[26:27], v3, s[0:1]
	s_add_i32 s25, s24, -8
.LBB5_974:                              ;   in Loop: Header=BB5_958 Depth=2
	s_add_u32 s0, s20, 8
	s_addc_u32 s1, s21, 0
	s_cmp_gt_u32 s25, 7
	s_cbranch_scc1 .LBB5_978
; %bb.975:                              ;   in Loop: Header=BB5_958 Depth=2
	s_cmp_eq_u32 s25, 0
	s_cbranch_scc1 .LBB5_979
; %bb.976:                              ;   in Loop: Header=BB5_958 Depth=2
	v_mov_b32_e32 v28, 0
	s_mov_b64 s[0:1], 0
	v_mov_b32_e32 v29, 0
	s_mov_b64 s[22:23], 0
.LBB5_977:                              ;   Parent Loop BB5_3 Depth=1
                                        ;     Parent Loop BB5_958 Depth=2
                                        ; =>    This Inner Loop Header: Depth=3
	s_add_u32 s26, s20, s22
	s_addc_u32 s27, s21, s23
	global_load_ubyte v0, v3, s[26:27]
	s_add_u32 s22, s22, 1
	s_addc_u32 s23, s23, 0
	s_waitcnt vmcnt(0)
	v_and_b32_e32 v2, 0xffff, v0
	v_lshlrev_b64 v[0:1], s0, v[2:3]
	s_add_u32 s0, s0, 8
	s_addc_u32 s1, s1, 0
	v_or_b32_e32 v28, v0, v28
	s_cmp_lg_u32 s25, s22
	v_or_b32_e32 v29, v1, v29
	s_cbranch_scc1 .LBB5_977
	s_branch .LBB5_980
.LBB5_978:                              ;   in Loop: Header=BB5_958 Depth=2
	s_mov_b32 s24, 0
	s_branch .LBB5_981
.LBB5_979:                              ;   in Loop: Header=BB5_958 Depth=2
	v_mov_b32_e32 v28, 0
	v_mov_b32_e32 v29, 0
.LBB5_980:                              ;   in Loop: Header=BB5_958 Depth=2
	s_mov_b64 s[0:1], s[20:21]
	s_mov_b32 s24, 0
	s_cbranch_execnz .LBB5_982
.LBB5_981:                              ;   in Loop: Header=BB5_958 Depth=2
	global_load_dwordx2 v[28:29], v3, s[20:21]
	s_add_i32 s24, s25, -8
.LBB5_982:                              ;   in Loop: Header=BB5_958 Depth=2
	s_add_u32 s20, s0, 8
	s_addc_u32 s21, s1, 0
	s_cmp_gt_u32 s24, 7
	s_cbranch_scc1 .LBB5_986
; %bb.983:                              ;   in Loop: Header=BB5_958 Depth=2
	s_cmp_eq_u32 s24, 0
	s_cbranch_scc1 .LBB5_987
; %bb.984:                              ;   in Loop: Header=BB5_958 Depth=2
	v_mov_b32_e32 v30, 0
	s_mov_b64 s[20:21], 0
	v_mov_b32_e32 v31, 0
	s_mov_b64 s[22:23], 0
.LBB5_985:                              ;   Parent Loop BB5_3 Depth=1
                                        ;     Parent Loop BB5_958 Depth=2
                                        ; =>    This Inner Loop Header: Depth=3
	s_add_u32 s26, s0, s22
	s_addc_u32 s27, s1, s23
	global_load_ubyte v0, v3, s[26:27]
	s_add_u32 s22, s22, 1
	s_addc_u32 s23, s23, 0
	s_waitcnt vmcnt(0)
	v_and_b32_e32 v2, 0xffff, v0
	v_lshlrev_b64 v[0:1], s20, v[2:3]
	s_add_u32 s20, s20, 8
	s_addc_u32 s21, s21, 0
	v_or_b32_e32 v30, v0, v30
	s_cmp_lg_u32 s24, s22
	v_or_b32_e32 v31, v1, v31
	s_cbranch_scc1 .LBB5_985
	s_branch .LBB5_988
.LBB5_986:                              ;   in Loop: Header=BB5_958 Depth=2
                                        ; implicit-def: $vgpr30_vgpr31
	s_mov_b32 s25, 0
	s_branch .LBB5_989
.LBB5_987:                              ;   in Loop: Header=BB5_958 Depth=2
	v_mov_b32_e32 v30, 0
	v_mov_b32_e32 v31, 0
.LBB5_988:                              ;   in Loop: Header=BB5_958 Depth=2
	s_mov_b64 s[20:21], s[0:1]
	s_mov_b32 s25, 0
	s_cbranch_execnz .LBB5_990
.LBB5_989:                              ;   in Loop: Header=BB5_958 Depth=2
	global_load_dwordx2 v[30:31], v3, s[0:1]
	s_add_i32 s25, s24, -8
.LBB5_990:                              ;   in Loop: Header=BB5_958 Depth=2
	s_add_u32 s0, s20, 8
	s_addc_u32 s1, s21, 0
	s_cmp_gt_u32 s25, 7
	s_cbranch_scc1 .LBB5_994
; %bb.991:                              ;   in Loop: Header=BB5_958 Depth=2
	s_cmp_eq_u32 s25, 0
	s_cbranch_scc1 .LBB5_995
; %bb.992:                              ;   in Loop: Header=BB5_958 Depth=2
	v_mov_b32_e32 v32, 0
	s_mov_b64 s[0:1], 0
	v_mov_b32_e32 v33, 0
	s_mov_b64 s[22:23], 0
.LBB5_993:                              ;   Parent Loop BB5_3 Depth=1
                                        ;     Parent Loop BB5_958 Depth=2
                                        ; =>    This Inner Loop Header: Depth=3
	s_add_u32 s26, s20, s22
	s_addc_u32 s27, s21, s23
	global_load_ubyte v0, v3, s[26:27]
	s_add_u32 s22, s22, 1
	s_addc_u32 s23, s23, 0
	s_waitcnt vmcnt(0)
	v_and_b32_e32 v2, 0xffff, v0
	v_lshlrev_b64 v[0:1], s0, v[2:3]
	s_add_u32 s0, s0, 8
	s_addc_u32 s1, s1, 0
	v_or_b32_e32 v32, v0, v32
	s_cmp_lg_u32 s25, s22
	v_or_b32_e32 v33, v1, v33
	s_cbranch_scc1 .LBB5_993
	s_branch .LBB5_996
.LBB5_994:                              ;   in Loop: Header=BB5_958 Depth=2
	s_mov_b32 s24, 0
	s_branch .LBB5_997
.LBB5_995:                              ;   in Loop: Header=BB5_958 Depth=2
	v_mov_b32_e32 v32, 0
	v_mov_b32_e32 v33, 0
.LBB5_996:                              ;   in Loop: Header=BB5_958 Depth=2
	s_mov_b64 s[0:1], s[20:21]
	s_mov_b32 s24, 0
	s_cbranch_execnz .LBB5_998
.LBB5_997:                              ;   in Loop: Header=BB5_958 Depth=2
	global_load_dwordx2 v[32:33], v3, s[20:21]
	s_add_i32 s24, s25, -8
.LBB5_998:                              ;   in Loop: Header=BB5_958 Depth=2
	s_add_u32 s20, s0, 8
	s_addc_u32 s21, s1, 0
	s_cmp_gt_u32 s24, 7
	s_cbranch_scc1 .LBB5_1002
; %bb.999:                              ;   in Loop: Header=BB5_958 Depth=2
	s_cmp_eq_u32 s24, 0
	s_cbranch_scc1 .LBB5_1003
; %bb.1000:                             ;   in Loop: Header=BB5_958 Depth=2
	v_mov_b32_e32 v34, 0
	s_mov_b64 s[20:21], 0
	v_mov_b32_e32 v35, 0
	s_mov_b64 s[22:23], 0
.LBB5_1001:                             ;   Parent Loop BB5_3 Depth=1
                                        ;     Parent Loop BB5_958 Depth=2
                                        ; =>    This Inner Loop Header: Depth=3
	s_add_u32 s26, s0, s22
	s_addc_u32 s27, s1, s23
	global_load_ubyte v0, v3, s[26:27]
	s_add_u32 s22, s22, 1
	s_addc_u32 s23, s23, 0
	s_waitcnt vmcnt(0)
	v_and_b32_e32 v2, 0xffff, v0
	v_lshlrev_b64 v[0:1], s20, v[2:3]
	s_add_u32 s20, s20, 8
	s_addc_u32 s21, s21, 0
	v_or_b32_e32 v34, v0, v34
	s_cmp_lg_u32 s24, s22
	v_or_b32_e32 v35, v1, v35
	s_cbranch_scc1 .LBB5_1001
	s_branch .LBB5_1004
.LBB5_1002:                             ;   in Loop: Header=BB5_958 Depth=2
                                        ; implicit-def: $vgpr34_vgpr35
	s_mov_b32 s25, 0
	s_branch .LBB5_1005
.LBB5_1003:                             ;   in Loop: Header=BB5_958 Depth=2
	v_mov_b32_e32 v34, 0
	v_mov_b32_e32 v35, 0
.LBB5_1004:                             ;   in Loop: Header=BB5_958 Depth=2
	s_mov_b64 s[20:21], s[0:1]
	s_mov_b32 s25, 0
	s_cbranch_execnz .LBB5_1006
.LBB5_1005:                             ;   in Loop: Header=BB5_958 Depth=2
	global_load_dwordx2 v[34:35], v3, s[0:1]
	s_add_i32 s25, s24, -8
.LBB5_1006:                             ;   in Loop: Header=BB5_958 Depth=2
	s_cmp_gt_u32 s25, 7
	s_cbranch_scc1 .LBB5_1010
; %bb.1007:                             ;   in Loop: Header=BB5_958 Depth=2
	s_cmp_eq_u32 s25, 0
	s_cbranch_scc1 .LBB5_1011
; %bb.1008:                             ;   in Loop: Header=BB5_958 Depth=2
	v_mov_b32_e32 v36, 0
	s_mov_b64 s[0:1], 0
	v_mov_b32_e32 v37, 0
	s_mov_b64 s[22:23], s[20:21]
.LBB5_1009:                             ;   Parent Loop BB5_3 Depth=1
                                        ;     Parent Loop BB5_958 Depth=2
                                        ; =>    This Inner Loop Header: Depth=3
	global_load_ubyte v0, v3, s[22:23]
	s_add_i32 s25, s25, -1
	s_waitcnt vmcnt(0)
	v_and_b32_e32 v2, 0xffff, v0
	v_lshlrev_b64 v[0:1], s0, v[2:3]
	s_add_u32 s0, s0, 8
	s_addc_u32 s1, s1, 0
	s_add_u32 s22, s22, 1
	s_addc_u32 s23, s23, 0
	v_or_b32_e32 v36, v0, v36
	s_cmp_lg_u32 s25, 0
	v_or_b32_e32 v37, v1, v37
	s_cbranch_scc1 .LBB5_1009
	s_branch .LBB5_1012
.LBB5_1010:                             ;   in Loop: Header=BB5_958 Depth=2
	s_branch .LBB5_1013
.LBB5_1011:                             ;   in Loop: Header=BB5_958 Depth=2
	v_mov_b32_e32 v36, 0
	v_mov_b32_e32 v37, 0
.LBB5_1012:                             ;   in Loop: Header=BB5_958 Depth=2
	s_cbranch_execnz .LBB5_1014
.LBB5_1013:                             ;   in Loop: Header=BB5_958 Depth=2
	global_load_dwordx2 v[36:37], v3, s[20:21]
.LBB5_1014:                             ;   in Loop: Header=BB5_958 Depth=2
	v_readfirstlane_b32 s0, v47
	v_mov_b32_e32 v0, 0
	v_mov_b32_e32 v1, 0
	v_cmp_eq_u32_e64 s[0:1], s0, v47
	s_and_saveexec_b64 s[20:21], s[0:1]
	s_cbranch_execz .LBB5_1020
; %bb.1015:                             ;   in Loop: Header=BB5_958 Depth=2
	global_load_dwordx2 v[40:41], v3, s[2:3] offset:24 glc
	s_waitcnt vmcnt(0)
	buffer_wbinvl1_vol
	global_load_dwordx2 v[0:1], v3, s[2:3] offset:40
	global_load_dwordx2 v[4:5], v3, s[2:3]
	s_waitcnt vmcnt(1)
	v_and_b32_e32 v0, v0, v40
	v_and_b32_e32 v1, v1, v41
	v_mul_lo_u32 v1, v1, 24
	v_mul_hi_u32 v2, v0, 24
	v_mul_lo_u32 v0, v0, 24
	v_add_u32_e32 v1, v2, v1
	s_waitcnt vmcnt(0)
	v_add_co_u32_e32 v0, vcc, v4, v0
	v_addc_co_u32_e32 v1, vcc, v5, v1, vcc
	global_load_dwordx2 v[38:39], v[0:1], off glc
	s_waitcnt vmcnt(0)
	global_atomic_cmpswap_x2 v[0:1], v3, v[38:41], s[2:3] offset:24 glc
	s_waitcnt vmcnt(0)
	buffer_wbinvl1_vol
	v_cmp_ne_u64_e32 vcc, v[0:1], v[40:41]
	s_and_saveexec_b64 s[22:23], vcc
	s_cbranch_execz .LBB5_1019
; %bb.1016:                             ;   in Loop: Header=BB5_958 Depth=2
	s_mov_b64 s[24:25], 0
.LBB5_1017:                             ;   Parent Loop BB5_3 Depth=1
                                        ;     Parent Loop BB5_958 Depth=2
                                        ; =>    This Inner Loop Header: Depth=3
	s_sleep 1
	global_load_dwordx2 v[4:5], v3, s[2:3] offset:40
	global_load_dwordx2 v[9:10], v3, s[2:3]
	v_mov_b32_e32 v41, v1
	v_mov_b32_e32 v40, v0
	s_waitcnt vmcnt(1)
	v_and_b32_e32 v0, v4, v40
	s_waitcnt vmcnt(0)
	v_mad_u64_u32 v[0:1], s[26:27], v0, 24, v[9:10]
	v_and_b32_e32 v2, v5, v41
	v_mad_u64_u32 v[1:2], s[26:27], v2, 24, v[1:2]
	global_load_dwordx2 v[38:39], v[0:1], off glc
	s_waitcnt vmcnt(0)
	global_atomic_cmpswap_x2 v[0:1], v3, v[38:41], s[2:3] offset:24 glc
	s_waitcnt vmcnt(0)
	buffer_wbinvl1_vol
	v_cmp_eq_u64_e32 vcc, v[0:1], v[40:41]
	s_or_b64 s[24:25], vcc, s[24:25]
	s_andn2_b64 exec, exec, s[24:25]
	s_cbranch_execnz .LBB5_1017
; %bb.1018:                             ;   in Loop: Header=BB5_958 Depth=2
	s_or_b64 exec, exec, s[24:25]
.LBB5_1019:                             ;   in Loop: Header=BB5_958 Depth=2
	s_or_b64 exec, exec, s[22:23]
.LBB5_1020:                             ;   in Loop: Header=BB5_958 Depth=2
	s_or_b64 exec, exec, s[20:21]
	global_load_dwordx2 v[4:5], v3, s[2:3] offset:40
	global_load_dwordx4 v[38:41], v3, s[2:3]
	v_readfirstlane_b32 s21, v1
	v_readfirstlane_b32 s20, v0
	s_mov_b64 s[22:23], exec
	s_waitcnt vmcnt(1)
	v_readfirstlane_b32 s24, v4
	v_readfirstlane_b32 s25, v5
	s_and_b64 s[24:25], s[24:25], s[20:21]
	s_mul_i32 s26, s25, 24
	s_mul_hi_u32 s27, s24, 24
	s_mul_i32 s33, s24, 24
	s_add_i32 s26, s27, s26
	v_mov_b32_e32 v1, s26
	s_waitcnt vmcnt(0)
	v_add_co_u32_e32 v0, vcc, s33, v38
	v_addc_co_u32_e32 v1, vcc, v39, v1, vcc
	s_and_saveexec_b64 s[26:27], s[0:1]
	s_cbranch_execz .LBB5_1022
; %bb.1021:                             ;   in Loop: Header=BB5_958 Depth=2
	v_mov_b32_e32 v4, s22
	v_mov_b32_e32 v5, s23
	global_store_dwordx4 v[0:1], v[4:7], off offset:8
.LBB5_1022:                             ;   in Loop: Header=BB5_958 Depth=2
	s_or_b64 exec, exec, s[26:27]
	s_lshl_b64 s[22:23], s[24:25], 12
	v_mov_b32_e32 v2, s23
	v_add_co_u32_e32 v40, vcc, s22, v40
	v_addc_co_u32_e32 v41, vcc, v41, v2, vcc
	v_cmp_lt_u64_e64 vcc, s[16:17], 57
	s_lshl_b32 s22, s18, 2
	v_cndmask_b32_e32 v2, 0, v11, vcc
	s_add_i32 s22, s22, 28
	v_and_b32_e32 v4, 0xffffff1f, v22
	s_and_b32 s22, s22, 0x1e0
	v_or_b32_e32 v2, v4, v2
	v_or_b32_e32 v22, s22, v2
	v_readfirstlane_b32 s22, v40
	v_readfirstlane_b32 s23, v41
	s_nop 4
	global_store_dwordx4 v53, v[22:25], s[22:23]
	global_store_dwordx4 v53, v[26:29], s[22:23] offset:16
	global_store_dwordx4 v53, v[30:33], s[22:23] offset:32
	global_store_dwordx4 v53, v[34:37], s[22:23] offset:48
	s_and_saveexec_b64 s[22:23], s[0:1]
	s_cbranch_execz .LBB5_1030
; %bb.1023:                             ;   in Loop: Header=BB5_958 Depth=2
	global_load_dwordx2 v[26:27], v3, s[2:3] offset:32 glc
	global_load_dwordx2 v[4:5], v3, s[2:3] offset:40
	v_mov_b32_e32 v24, s20
	v_mov_b32_e32 v25, s21
	s_waitcnt vmcnt(0)
	v_readfirstlane_b32 s24, v4
	v_readfirstlane_b32 s25, v5
	s_and_b64 s[24:25], s[24:25], s[20:21]
	s_mul_i32 s25, s25, 24
	s_mul_hi_u32 s26, s24, 24
	s_mul_i32 s24, s24, 24
	s_add_i32 s25, s26, s25
	v_mov_b32_e32 v2, s25
	v_add_co_u32_e32 v4, vcc, s24, v38
	v_addc_co_u32_e32 v5, vcc, v39, v2, vcc
	global_store_dwordx2 v[4:5], v[26:27], off
	s_waitcnt vmcnt(0)
	global_atomic_cmpswap_x2 v[24:25], v3, v[24:27], s[2:3] offset:32 glc
	s_waitcnt vmcnt(0)
	v_cmp_ne_u64_e32 vcc, v[24:25], v[26:27]
	s_and_saveexec_b64 s[24:25], vcc
	s_cbranch_execz .LBB5_1026
; %bb.1024:                             ;   in Loop: Header=BB5_958 Depth=2
	s_mov_b64 s[26:27], 0
.LBB5_1025:                             ;   Parent Loop BB5_3 Depth=1
                                        ;     Parent Loop BB5_958 Depth=2
                                        ; =>    This Inner Loop Header: Depth=3
	s_sleep 1
	global_store_dwordx2 v[4:5], v[24:25], off
	v_mov_b32_e32 v22, s20
	v_mov_b32_e32 v23, s21
	s_waitcnt vmcnt(0)
	global_atomic_cmpswap_x2 v[9:10], v3, v[22:25], s[2:3] offset:32 glc
	s_waitcnt vmcnt(0)
	v_cmp_eq_u64_e32 vcc, v[9:10], v[24:25]
	v_mov_b32_e32 v25, v10
	s_or_b64 s[26:27], vcc, s[26:27]
	v_mov_b32_e32 v24, v9
	s_andn2_b64 exec, exec, s[26:27]
	s_cbranch_execnz .LBB5_1025
.LBB5_1026:                             ;   in Loop: Header=BB5_958 Depth=2
	s_or_b64 exec, exec, s[24:25]
	global_load_dwordx2 v[4:5], v3, s[2:3] offset:16
	s_mov_b64 s[26:27], exec
	v_mbcnt_lo_u32_b32 v2, s26, 0
	v_mbcnt_hi_u32_b32 v2, s27, v2
	v_cmp_eq_u32_e32 vcc, 0, v2
	s_and_saveexec_b64 s[24:25], vcc
	s_cbranch_execz .LBB5_1028
; %bb.1027:                             ;   in Loop: Header=BB5_958 Depth=2
	s_bcnt1_i32_b64 s26, s[26:27]
	v_mov_b32_e32 v2, s26
	s_waitcnt vmcnt(0)
	global_atomic_add_x2 v[4:5], v[2:3], off offset:8
.LBB5_1028:                             ;   in Loop: Header=BB5_958 Depth=2
	s_or_b64 exec, exec, s[24:25]
	s_waitcnt vmcnt(0)
	global_load_dwordx2 v[9:10], v[4:5], off offset:16
	s_waitcnt vmcnt(0)
	v_cmp_eq_u64_e32 vcc, 0, v[9:10]
	s_cbranch_vccnz .LBB5_1030
; %bb.1029:                             ;   in Loop: Header=BB5_958 Depth=2
	global_load_dword v2, v[4:5], off offset:24
	s_waitcnt vmcnt(0)
	v_readfirstlane_b32 s24, v2
	s_and_b32 m0, s24, 0xffffff
	global_store_dwordx2 v[9:10], v[2:3], off
	s_sendmsg sendmsg(MSG_INTERRUPT)
.LBB5_1030:                             ;   in Loop: Header=BB5_958 Depth=2
	s_or_b64 exec, exec, s[22:23]
	v_add_co_u32_e32 v4, vcc, v40, v53
	v_addc_co_u32_e32 v5, vcc, 0, v41, vcc
	s_branch .LBB5_1034
.LBB5_1031:                             ;   in Loop: Header=BB5_1034 Depth=3
	s_or_b64 exec, exec, s[22:23]
	v_readfirstlane_b32 s22, v2
	s_cmp_eq_u32 s22, 0
	s_cbranch_scc1 .LBB5_1033
; %bb.1032:                             ;   in Loop: Header=BB5_1034 Depth=3
	s_sleep 1
	s_cbranch_execnz .LBB5_1034
	s_branch .LBB5_1036
.LBB5_1033:                             ;   in Loop: Header=BB5_958 Depth=2
	s_branch .LBB5_1036
.LBB5_1034:                             ;   Parent Loop BB5_3 Depth=1
                                        ;     Parent Loop BB5_958 Depth=2
                                        ; =>    This Inner Loop Header: Depth=3
	v_mov_b32_e32 v2, 1
	s_and_saveexec_b64 s[22:23], s[0:1]
	s_cbranch_execz .LBB5_1031
; %bb.1035:                             ;   in Loop: Header=BB5_1034 Depth=3
	global_load_dword v2, v[0:1], off offset:20 glc
	s_waitcnt vmcnt(0)
	buffer_wbinvl1_vol
	v_and_b32_e32 v2, 1, v2
	s_branch .LBB5_1031
.LBB5_1036:                             ;   in Loop: Header=BB5_958 Depth=2
	global_load_dwordx2 v[22:23], v[4:5], off
	s_and_saveexec_b64 s[22:23], s[0:1]
	s_cbranch_execz .LBB5_957
; %bb.1037:                             ;   in Loop: Header=BB5_958 Depth=2
	global_load_dwordx2 v[0:1], v3, s[2:3] offset:40
	global_load_dwordx2 v[28:29], v3, s[2:3] offset:24 glc
	global_load_dwordx2 v[4:5], v3, s[2:3]
	s_waitcnt vmcnt(2)
	v_readfirstlane_b32 s24, v0
	v_readfirstlane_b32 s25, v1
	s_add_u32 s26, s24, 1
	s_addc_u32 s27, s25, 0
	s_add_u32 s0, s26, s20
	s_addc_u32 s1, s27, s21
	s_cmp_eq_u64 s[0:1], 0
	s_cselect_b32 s1, s27, s1
	s_cselect_b32 s0, s26, s0
	s_and_b64 s[20:21], s[0:1], s[24:25]
	s_mul_i32 s21, s21, 24
	s_mul_hi_u32 s24, s20, 24
	s_mul_i32 s20, s20, 24
	s_add_i32 s21, s24, s21
	v_mov_b32_e32 v1, s21
	s_waitcnt vmcnt(0)
	v_add_co_u32_e32 v0, vcc, s20, v4
	v_addc_co_u32_e32 v1, vcc, v5, v1, vcc
	v_mov_b32_e32 v26, s0
	global_store_dwordx2 v[0:1], v[28:29], off
	v_mov_b32_e32 v27, s1
	s_waitcnt vmcnt(0)
	global_atomic_cmpswap_x2 v[26:27], v3, v[26:29], s[2:3] offset:24 glc
	s_waitcnt vmcnt(0)
	v_cmp_ne_u64_e32 vcc, v[26:27], v[28:29]
	s_and_b64 exec, exec, vcc
	s_cbranch_execz .LBB5_957
; %bb.1038:                             ;   in Loop: Header=BB5_958 Depth=2
	s_mov_b64 s[20:21], 0
.LBB5_1039:                             ;   Parent Loop BB5_3 Depth=1
                                        ;     Parent Loop BB5_958 Depth=2
                                        ; =>    This Inner Loop Header: Depth=3
	s_sleep 1
	global_store_dwordx2 v[0:1], v[26:27], off
	v_mov_b32_e32 v24, s0
	v_mov_b32_e32 v25, s1
	s_waitcnt vmcnt(0)
	global_atomic_cmpswap_x2 v[4:5], v3, v[24:27], s[2:3] offset:24 glc
	s_waitcnt vmcnt(0)
	v_cmp_eq_u64_e32 vcc, v[4:5], v[26:27]
	v_mov_b32_e32 v27, v5
	s_or_b64 s[20:21], vcc, s[20:21]
	v_mov_b32_e32 v26, v4
	s_andn2_b64 exec, exec, s[20:21]
	s_cbranch_execnz .LBB5_1039
	s_branch .LBB5_957
.LBB5_1040:                             ;   in Loop: Header=BB5_3 Depth=1
	s_branch .LBB5_1097
.LBB5_1041:                             ;   in Loop: Header=BB5_3 Depth=1
                                        ; implicit-def: $vgpr20_vgpr21
	s_cbranch_execz .LBB5_955
; %bb.1042:                             ;   in Loop: Header=BB5_3 Depth=1
	v_readfirstlane_b32 s0, v47
	v_mov_b32_e32 v4, 0
	v_mov_b32_e32 v5, 0
	v_cmp_eq_u32_e64 s[0:1], s0, v47
	s_and_saveexec_b64 s[14:15], s[0:1]
	s_cbranch_execz .LBB5_1048
; %bb.1043:                             ;   in Loop: Header=BB5_3 Depth=1
	global_load_dwordx2 v[22:23], v3, s[2:3] offset:24 glc
	s_waitcnt vmcnt(0)
	buffer_wbinvl1_vol
	global_load_dwordx2 v[4:5], v3, s[2:3] offset:40
	global_load_dwordx2 v[9:10], v3, s[2:3]
	s_waitcnt vmcnt(1)
	v_and_b32_e32 v2, v4, v22
	v_and_b32_e32 v4, v5, v23
	v_mul_lo_u32 v4, v4, 24
	v_mul_hi_u32 v5, v2, 24
	v_mul_lo_u32 v2, v2, 24
	v_add_u32_e32 v5, v5, v4
	s_waitcnt vmcnt(0)
	v_add_co_u32_e32 v4, vcc, v9, v2
	v_addc_co_u32_e32 v5, vcc, v10, v5, vcc
	global_load_dwordx2 v[20:21], v[4:5], off glc
	s_waitcnt vmcnt(0)
	global_atomic_cmpswap_x2 v[4:5], v3, v[20:23], s[2:3] offset:24 glc
	s_waitcnt vmcnt(0)
	buffer_wbinvl1_vol
	v_cmp_ne_u64_e32 vcc, v[4:5], v[22:23]
	s_and_saveexec_b64 s[16:17], vcc
	s_cbranch_execz .LBB5_1047
; %bb.1044:                             ;   in Loop: Header=BB5_3 Depth=1
	s_mov_b64 s[18:19], 0
.LBB5_1045:                             ;   Parent Loop BB5_3 Depth=1
                                        ; =>  This Inner Loop Header: Depth=2
	s_sleep 1
	global_load_dwordx2 v[9:10], v3, s[2:3] offset:40
	global_load_dwordx2 v[20:21], v3, s[2:3]
	v_mov_b32_e32 v23, v5
	v_mov_b32_e32 v22, v4
	s_waitcnt vmcnt(1)
	v_and_b32_e32 v2, v9, v22
	s_waitcnt vmcnt(0)
	v_mad_u64_u32 v[4:5], s[20:21], v2, 24, v[20:21]
	v_and_b32_e32 v9, v10, v23
	v_mov_b32_e32 v2, v5
	v_mad_u64_u32 v[9:10], s[20:21], v9, 24, v[2:3]
	v_mov_b32_e32 v5, v9
	global_load_dwordx2 v[20:21], v[4:5], off glc
	s_waitcnt vmcnt(0)
	global_atomic_cmpswap_x2 v[4:5], v3, v[20:23], s[2:3] offset:24 glc
	s_waitcnt vmcnt(0)
	buffer_wbinvl1_vol
	v_cmp_eq_u64_e32 vcc, v[4:5], v[22:23]
	s_or_b64 s[18:19], vcc, s[18:19]
	s_andn2_b64 exec, exec, s[18:19]
	s_cbranch_execnz .LBB5_1045
; %bb.1046:                             ;   in Loop: Header=BB5_3 Depth=1
	s_or_b64 exec, exec, s[18:19]
.LBB5_1047:                             ;   in Loop: Header=BB5_3 Depth=1
	s_or_b64 exec, exec, s[16:17]
.LBB5_1048:                             ;   in Loop: Header=BB5_3 Depth=1
	s_or_b64 exec, exec, s[14:15]
	global_load_dwordx2 v[9:10], v3, s[2:3] offset:40
	global_load_dwordx4 v[20:23], v3, s[2:3]
	v_readfirstlane_b32 s15, v5
	v_readfirstlane_b32 s14, v4
	s_mov_b64 s[16:17], exec
	s_waitcnt vmcnt(1)
	v_readfirstlane_b32 s18, v9
	v_readfirstlane_b32 s19, v10
	s_and_b64 s[18:19], s[18:19], s[14:15]
	s_mul_i32 s20, s19, 24
	s_mul_hi_u32 s21, s18, 24
	s_mul_i32 s22, s18, 24
	s_add_i32 s20, s21, s20
	v_mov_b32_e32 v2, s20
	s_waitcnt vmcnt(0)
	v_add_co_u32_e32 v9, vcc, s22, v20
	v_addc_co_u32_e32 v10, vcc, v21, v2, vcc
	s_and_saveexec_b64 s[20:21], s[0:1]
	s_cbranch_execz .LBB5_1050
; %bb.1049:                             ;   in Loop: Header=BB5_3 Depth=1
	v_mov_b32_e32 v4, s16
	v_mov_b32_e32 v5, s17
	global_store_dwordx4 v[9:10], v[4:7], off offset:8
.LBB5_1050:                             ;   in Loop: Header=BB5_3 Depth=1
	s_or_b64 exec, exec, s[20:21]
	s_lshl_b64 s[16:17], s[18:19], 12
	v_mov_b32_e32 v2, s17
	v_add_co_u32_e32 v11, vcc, s16, v22
	v_addc_co_u32_e32 v24, vcc, v23, v2, vcc
	v_mov_b32_e32 v28, s11
	v_and_or_b32 v0, v0, s29, 32
	v_mov_b32_e32 v2, v3
	v_readfirstlane_b32 s16, v11
	v_readfirstlane_b32 s17, v24
	v_mov_b32_e32 v27, s10
	v_mov_b32_e32 v26, s9
	v_mov_b32_e32 v25, s8
	s_nop 1
	global_store_dwordx4 v53, v[0:3], s[16:17]
	global_store_dwordx4 v53, v[25:28], s[16:17] offset:16
	global_store_dwordx4 v53, v[25:28], s[16:17] offset:32
	;; [unrolled: 1-line block ×3, first 2 shown]
	s_and_saveexec_b64 s[16:17], s[0:1]
	s_cbranch_execz .LBB5_1058
; %bb.1051:                             ;   in Loop: Header=BB5_3 Depth=1
	global_load_dwordx2 v[27:28], v3, s[2:3] offset:32 glc
	global_load_dwordx2 v[0:1], v3, s[2:3] offset:40
	v_mov_b32_e32 v25, s14
	v_mov_b32_e32 v26, s15
	s_waitcnt vmcnt(0)
	v_readfirstlane_b32 s18, v0
	v_readfirstlane_b32 s19, v1
	s_and_b64 s[18:19], s[18:19], s[14:15]
	s_mul_i32 s19, s19, 24
	s_mul_hi_u32 s20, s18, 24
	s_mul_i32 s18, s18, 24
	s_add_i32 s19, s20, s19
	v_mov_b32_e32 v1, s19
	v_add_co_u32_e32 v0, vcc, s18, v20
	v_addc_co_u32_e32 v1, vcc, v21, v1, vcc
	global_store_dwordx2 v[0:1], v[27:28], off
	s_waitcnt vmcnt(0)
	global_atomic_cmpswap_x2 v[22:23], v3, v[25:28], s[2:3] offset:32 glc
	s_waitcnt vmcnt(0)
	v_cmp_ne_u64_e32 vcc, v[22:23], v[27:28]
	s_and_saveexec_b64 s[18:19], vcc
	s_cbranch_execz .LBB5_1054
; %bb.1052:                             ;   in Loop: Header=BB5_3 Depth=1
	s_mov_b64 s[20:21], 0
.LBB5_1053:                             ;   Parent Loop BB5_3 Depth=1
                                        ; =>  This Inner Loop Header: Depth=2
	s_sleep 1
	global_store_dwordx2 v[0:1], v[22:23], off
	v_mov_b32_e32 v20, s14
	v_mov_b32_e32 v21, s15
	s_waitcnt vmcnt(0)
	global_atomic_cmpswap_x2 v[4:5], v3, v[20:23], s[2:3] offset:32 glc
	s_waitcnt vmcnt(0)
	v_cmp_eq_u64_e32 vcc, v[4:5], v[22:23]
	v_mov_b32_e32 v23, v5
	s_or_b64 s[20:21], vcc, s[20:21]
	v_mov_b32_e32 v22, v4
	s_andn2_b64 exec, exec, s[20:21]
	s_cbranch_execnz .LBB5_1053
.LBB5_1054:                             ;   in Loop: Header=BB5_3 Depth=1
	s_or_b64 exec, exec, s[18:19]
	global_load_dwordx2 v[0:1], v3, s[2:3] offset:16
	s_mov_b64 s[20:21], exec
	v_mbcnt_lo_u32_b32 v2, s20, 0
	v_mbcnt_hi_u32_b32 v2, s21, v2
	v_cmp_eq_u32_e32 vcc, 0, v2
	s_and_saveexec_b64 s[18:19], vcc
	s_cbranch_execz .LBB5_1056
; %bb.1055:                             ;   in Loop: Header=BB5_3 Depth=1
	s_bcnt1_i32_b64 s20, s[20:21]
	v_mov_b32_e32 v2, s20
	s_waitcnt vmcnt(0)
	global_atomic_add_x2 v[0:1], v[2:3], off offset:8
.LBB5_1056:                             ;   in Loop: Header=BB5_3 Depth=1
	s_or_b64 exec, exec, s[18:19]
	s_waitcnt vmcnt(0)
	global_load_dwordx2 v[4:5], v[0:1], off offset:16
	s_waitcnt vmcnt(0)
	v_cmp_eq_u64_e32 vcc, 0, v[4:5]
	s_cbranch_vccnz .LBB5_1058
; %bb.1057:                             ;   in Loop: Header=BB5_3 Depth=1
	global_load_dword v2, v[0:1], off offset:24
	s_waitcnt vmcnt(0)
	v_readfirstlane_b32 s18, v2
	s_and_b32 m0, s18, 0xffffff
	global_store_dwordx2 v[4:5], v[2:3], off
	s_sendmsg sendmsg(MSG_INTERRUPT)
.LBB5_1058:                             ;   in Loop: Header=BB5_3 Depth=1
	s_or_b64 exec, exec, s[16:17]
	v_add_co_u32_e32 v0, vcc, v11, v53
	v_addc_co_u32_e32 v1, vcc, 0, v24, vcc
	s_branch .LBB5_1062
.LBB5_1059:                             ;   in Loop: Header=BB5_1062 Depth=2
	s_or_b64 exec, exec, s[16:17]
	v_readfirstlane_b32 s16, v2
	s_cmp_eq_u32 s16, 0
	s_cbranch_scc1 .LBB5_1061
; %bb.1060:                             ;   in Loop: Header=BB5_1062 Depth=2
	s_sleep 1
	s_cbranch_execnz .LBB5_1062
	s_branch .LBB5_1064
.LBB5_1061:                             ;   in Loop: Header=BB5_3 Depth=1
	s_branch .LBB5_1064
.LBB5_1062:                             ;   Parent Loop BB5_3 Depth=1
                                        ; =>  This Inner Loop Header: Depth=2
	v_mov_b32_e32 v2, 1
	s_and_saveexec_b64 s[16:17], s[0:1]
	s_cbranch_execz .LBB5_1059
; %bb.1063:                             ;   in Loop: Header=BB5_1062 Depth=2
	global_load_dword v2, v[9:10], off offset:20 glc
	s_waitcnt vmcnt(0)
	buffer_wbinvl1_vol
	v_and_b32_e32 v2, 1, v2
	s_branch .LBB5_1059
.LBB5_1064:                             ;   in Loop: Header=BB5_3 Depth=1
	global_load_dwordx2 v[20:21], v[0:1], off
	s_and_saveexec_b64 s[16:17], s[0:1]
	s_cbranch_execz .LBB5_1068
; %bb.1065:                             ;   in Loop: Header=BB5_3 Depth=1
	global_load_dwordx2 v[0:1], v3, s[2:3] offset:40
	global_load_dwordx2 v[26:27], v3, s[2:3] offset:24 glc
	global_load_dwordx2 v[4:5], v3, s[2:3]
	s_waitcnt vmcnt(2)
	v_readfirstlane_b32 s18, v0
	v_readfirstlane_b32 s19, v1
	s_add_u32 s20, s18, 1
	s_addc_u32 s21, s19, 0
	s_add_u32 s0, s20, s14
	s_addc_u32 s1, s21, s15
	s_cmp_eq_u64 s[0:1], 0
	s_cselect_b32 s1, s21, s1
	s_cselect_b32 s0, s20, s0
	s_and_b64 s[14:15], s[0:1], s[18:19]
	s_mul_i32 s15, s15, 24
	s_mul_hi_u32 s18, s14, 24
	s_mul_i32 s14, s14, 24
	s_add_i32 s15, s18, s15
	v_mov_b32_e32 v1, s15
	s_waitcnt vmcnt(0)
	v_add_co_u32_e32 v0, vcc, s14, v4
	v_addc_co_u32_e32 v1, vcc, v5, v1, vcc
	v_mov_b32_e32 v24, s0
	global_store_dwordx2 v[0:1], v[26:27], off
	v_mov_b32_e32 v25, s1
	s_waitcnt vmcnt(0)
	global_atomic_cmpswap_x2 v[24:25], v3, v[24:27], s[2:3] offset:24 glc
	s_waitcnt vmcnt(0)
	v_cmp_ne_u64_e32 vcc, v[24:25], v[26:27]
	s_and_b64 exec, exec, vcc
	s_cbranch_execz .LBB5_1068
; %bb.1066:                             ;   in Loop: Header=BB5_3 Depth=1
	s_mov_b64 s[14:15], 0
.LBB5_1067:                             ;   Parent Loop BB5_3 Depth=1
                                        ; =>  This Inner Loop Header: Depth=2
	s_sleep 1
	global_store_dwordx2 v[0:1], v[24:25], off
	v_mov_b32_e32 v22, s0
	v_mov_b32_e32 v23, s1
	s_waitcnt vmcnt(0)
	global_atomic_cmpswap_x2 v[4:5], v3, v[22:25], s[2:3] offset:24 glc
	s_waitcnt vmcnt(0)
	v_cmp_eq_u64_e32 vcc, v[4:5], v[24:25]
	v_mov_b32_e32 v25, v5
	s_or_b64 s[14:15], vcc, s[14:15]
	v_mov_b32_e32 v24, v4
	s_andn2_b64 exec, exec, s[14:15]
	s_cbranch_execnz .LBB5_1067
.LBB5_1068:                             ;   in Loop: Header=BB5_3 Depth=1
	s_or_b64 exec, exec, s[16:17]
	s_and_b64 vcc, exec, s[12:13]
	s_cbranch_vccnz .LBB5_956
.LBB5_1069:                             ;   in Loop: Header=BB5_3 Depth=1
                                        ; implicit-def: $vgpr22_vgpr23
	s_cbranch_execz .LBB5_1097
; %bb.1070:                             ;   in Loop: Header=BB5_3 Depth=1
	v_readfirstlane_b32 s0, v47
	s_waitcnt vmcnt(0)
	v_mov_b32_e32 v0, 0
	v_mov_b32_e32 v1, 0
	v_cmp_eq_u32_e64 s[0:1], s0, v47
	s_and_saveexec_b64 s[14:15], s[0:1]
	s_cbranch_execz .LBB5_1076
; %bb.1071:                             ;   in Loop: Header=BB5_3 Depth=1
	global_load_dwordx2 v[24:25], v3, s[2:3] offset:24 glc
	s_waitcnt vmcnt(0)
	buffer_wbinvl1_vol
	global_load_dwordx2 v[0:1], v3, s[2:3] offset:40
	global_load_dwordx2 v[4:5], v3, s[2:3]
	s_waitcnt vmcnt(1)
	v_and_b32_e32 v0, v0, v24
	v_and_b32_e32 v1, v1, v25
	v_mul_lo_u32 v1, v1, 24
	v_mul_hi_u32 v2, v0, 24
	v_mul_lo_u32 v0, v0, 24
	v_add_u32_e32 v1, v2, v1
	s_waitcnt vmcnt(0)
	v_add_co_u32_e32 v0, vcc, v4, v0
	v_addc_co_u32_e32 v1, vcc, v5, v1, vcc
	global_load_dwordx2 v[22:23], v[0:1], off glc
	s_waitcnt vmcnt(0)
	global_atomic_cmpswap_x2 v[0:1], v3, v[22:25], s[2:3] offset:24 glc
	s_waitcnt vmcnt(0)
	buffer_wbinvl1_vol
	v_cmp_ne_u64_e32 vcc, v[0:1], v[24:25]
	s_and_saveexec_b64 s[16:17], vcc
	s_cbranch_execz .LBB5_1075
; %bb.1072:                             ;   in Loop: Header=BB5_3 Depth=1
	s_mov_b64 s[18:19], 0
.LBB5_1073:                             ;   Parent Loop BB5_3 Depth=1
                                        ; =>  This Inner Loop Header: Depth=2
	s_sleep 1
	global_load_dwordx2 v[4:5], v3, s[2:3] offset:40
	global_load_dwordx2 v[9:10], v3, s[2:3]
	v_mov_b32_e32 v25, v1
	v_mov_b32_e32 v24, v0
	s_waitcnt vmcnt(1)
	v_and_b32_e32 v0, v4, v24
	s_waitcnt vmcnt(0)
	v_mad_u64_u32 v[0:1], s[20:21], v0, 24, v[9:10]
	v_and_b32_e32 v2, v5, v25
	v_mad_u64_u32 v[1:2], s[20:21], v2, 24, v[1:2]
	global_load_dwordx2 v[22:23], v[0:1], off glc
	s_waitcnt vmcnt(0)
	global_atomic_cmpswap_x2 v[0:1], v3, v[22:25], s[2:3] offset:24 glc
	s_waitcnt vmcnt(0)
	buffer_wbinvl1_vol
	v_cmp_eq_u64_e32 vcc, v[0:1], v[24:25]
	s_or_b64 s[18:19], vcc, s[18:19]
	s_andn2_b64 exec, exec, s[18:19]
	s_cbranch_execnz .LBB5_1073
; %bb.1074:                             ;   in Loop: Header=BB5_3 Depth=1
	s_or_b64 exec, exec, s[18:19]
.LBB5_1075:                             ;   in Loop: Header=BB5_3 Depth=1
	s_or_b64 exec, exec, s[16:17]
.LBB5_1076:                             ;   in Loop: Header=BB5_3 Depth=1
	s_or_b64 exec, exec, s[14:15]
	global_load_dwordx2 v[4:5], v3, s[2:3] offset:40
	global_load_dwordx4 v[24:27], v3, s[2:3]
	v_readfirstlane_b32 s15, v1
	v_readfirstlane_b32 s14, v0
	s_mov_b64 s[16:17], exec
	s_waitcnt vmcnt(1)
	v_readfirstlane_b32 s18, v4
	v_readfirstlane_b32 s19, v5
	s_and_b64 s[18:19], s[18:19], s[14:15]
	s_mul_i32 s20, s19, 24
	s_mul_hi_u32 s21, s18, 24
	s_mul_i32 s22, s18, 24
	s_add_i32 s20, s21, s20
	v_mov_b32_e32 v1, s20
	s_waitcnt vmcnt(0)
	v_add_co_u32_e32 v0, vcc, s22, v24
	v_addc_co_u32_e32 v1, vcc, v25, v1, vcc
	s_and_saveexec_b64 s[20:21], s[0:1]
	s_cbranch_execz .LBB5_1078
; %bb.1077:                             ;   in Loop: Header=BB5_3 Depth=1
	v_mov_b32_e32 v4, s16
	v_mov_b32_e32 v5, s17
	global_store_dwordx4 v[0:1], v[4:7], off offset:8
.LBB5_1078:                             ;   in Loop: Header=BB5_3 Depth=1
	s_or_b64 exec, exec, s[20:21]
	s_lshl_b64 s[16:17], s[18:19], 12
	v_mov_b32_e32 v2, s17
	v_add_co_u32_e32 v11, vcc, s16, v26
	v_addc_co_u32_e32 v26, vcc, v27, v2, vcc
	v_and_or_b32 v20, v20, s29, 32
	v_mov_b32_e32 v22, v3
	v_mov_b32_e32 v23, v3
	v_readfirstlane_b32 s16, v11
	v_readfirstlane_b32 s17, v26
	s_nop 4
	global_store_dwordx4 v53, v[20:23], s[16:17]
	s_nop 0
	v_mov_b32_e32 v23, s11
	v_mov_b32_e32 v22, s10
	;; [unrolled: 1-line block ×4, first 2 shown]
	global_store_dwordx4 v53, v[20:23], s[16:17] offset:16
	global_store_dwordx4 v53, v[20:23], s[16:17] offset:32
	;; [unrolled: 1-line block ×3, first 2 shown]
	s_and_saveexec_b64 s[16:17], s[0:1]
	s_cbranch_execz .LBB5_1086
; %bb.1079:                             ;   in Loop: Header=BB5_3 Depth=1
	global_load_dwordx2 v[29:30], v3, s[2:3] offset:32 glc
	global_load_dwordx2 v[4:5], v3, s[2:3] offset:40
	v_mov_b32_e32 v27, s14
	v_mov_b32_e32 v28, s15
	s_waitcnt vmcnt(0)
	v_readfirstlane_b32 s18, v4
	v_readfirstlane_b32 s19, v5
	s_and_b64 s[18:19], s[18:19], s[14:15]
	s_mul_i32 s19, s19, 24
	s_mul_hi_u32 s20, s18, 24
	s_mul_i32 s18, s18, 24
	s_add_i32 s19, s20, s19
	v_mov_b32_e32 v2, s19
	v_add_co_u32_e32 v4, vcc, s18, v24
	v_addc_co_u32_e32 v5, vcc, v25, v2, vcc
	global_store_dwordx2 v[4:5], v[29:30], off
	s_waitcnt vmcnt(0)
	global_atomic_cmpswap_x2 v[22:23], v3, v[27:30], s[2:3] offset:32 glc
	s_waitcnt vmcnt(0)
	v_cmp_ne_u64_e32 vcc, v[22:23], v[29:30]
	s_and_saveexec_b64 s[18:19], vcc
	s_cbranch_execz .LBB5_1082
; %bb.1080:                             ;   in Loop: Header=BB5_3 Depth=1
	s_mov_b64 s[20:21], 0
.LBB5_1081:                             ;   Parent Loop BB5_3 Depth=1
                                        ; =>  This Inner Loop Header: Depth=2
	s_sleep 1
	global_store_dwordx2 v[4:5], v[22:23], off
	v_mov_b32_e32 v20, s14
	v_mov_b32_e32 v21, s15
	s_waitcnt vmcnt(0)
	global_atomic_cmpswap_x2 v[9:10], v3, v[20:23], s[2:3] offset:32 glc
	s_waitcnt vmcnt(0)
	v_cmp_eq_u64_e32 vcc, v[9:10], v[22:23]
	v_mov_b32_e32 v23, v10
	s_or_b64 s[20:21], vcc, s[20:21]
	v_mov_b32_e32 v22, v9
	s_andn2_b64 exec, exec, s[20:21]
	s_cbranch_execnz .LBB5_1081
.LBB5_1082:                             ;   in Loop: Header=BB5_3 Depth=1
	s_or_b64 exec, exec, s[18:19]
	global_load_dwordx2 v[4:5], v3, s[2:3] offset:16
	s_mov_b64 s[20:21], exec
	v_mbcnt_lo_u32_b32 v2, s20, 0
	v_mbcnt_hi_u32_b32 v2, s21, v2
	v_cmp_eq_u32_e32 vcc, 0, v2
	s_and_saveexec_b64 s[18:19], vcc
	s_cbranch_execz .LBB5_1084
; %bb.1083:                             ;   in Loop: Header=BB5_3 Depth=1
	s_bcnt1_i32_b64 s20, s[20:21]
	v_mov_b32_e32 v2, s20
	s_waitcnt vmcnt(0)
	global_atomic_add_x2 v[4:5], v[2:3], off offset:8
.LBB5_1084:                             ;   in Loop: Header=BB5_3 Depth=1
	s_or_b64 exec, exec, s[18:19]
	s_waitcnt vmcnt(0)
	global_load_dwordx2 v[9:10], v[4:5], off offset:16
	s_waitcnt vmcnt(0)
	v_cmp_eq_u64_e32 vcc, 0, v[9:10]
	s_cbranch_vccnz .LBB5_1086
; %bb.1085:                             ;   in Loop: Header=BB5_3 Depth=1
	global_load_dword v2, v[4:5], off offset:24
	s_waitcnt vmcnt(0)
	v_readfirstlane_b32 s18, v2
	s_and_b32 m0, s18, 0xffffff
	global_store_dwordx2 v[9:10], v[2:3], off
	s_sendmsg sendmsg(MSG_INTERRUPT)
.LBB5_1086:                             ;   in Loop: Header=BB5_3 Depth=1
	s_or_b64 exec, exec, s[16:17]
	v_add_co_u32_e32 v4, vcc, v11, v53
	v_addc_co_u32_e32 v5, vcc, 0, v26, vcc
	s_branch .LBB5_1090
.LBB5_1087:                             ;   in Loop: Header=BB5_1090 Depth=2
	s_or_b64 exec, exec, s[16:17]
	v_readfirstlane_b32 s16, v2
	s_cmp_eq_u32 s16, 0
	s_cbranch_scc1 .LBB5_1089
; %bb.1088:                             ;   in Loop: Header=BB5_1090 Depth=2
	s_sleep 1
	s_cbranch_execnz .LBB5_1090
	s_branch .LBB5_1092
.LBB5_1089:                             ;   in Loop: Header=BB5_3 Depth=1
	s_branch .LBB5_1092
.LBB5_1090:                             ;   Parent Loop BB5_3 Depth=1
                                        ; =>  This Inner Loop Header: Depth=2
	v_mov_b32_e32 v2, 1
	s_and_saveexec_b64 s[16:17], s[0:1]
	s_cbranch_execz .LBB5_1087
; %bb.1091:                             ;   in Loop: Header=BB5_1090 Depth=2
	global_load_dword v2, v[0:1], off offset:20 glc
	s_waitcnt vmcnt(0)
	buffer_wbinvl1_vol
	v_and_b32_e32 v2, 1, v2
	s_branch .LBB5_1087
.LBB5_1092:                             ;   in Loop: Header=BB5_3 Depth=1
	global_load_dwordx2 v[22:23], v[4:5], off
	s_and_saveexec_b64 s[16:17], s[0:1]
	s_cbranch_execz .LBB5_1096
; %bb.1093:                             ;   in Loop: Header=BB5_3 Depth=1
	global_load_dwordx2 v[0:1], v3, s[2:3] offset:40
	global_load_dwordx2 v[28:29], v3, s[2:3] offset:24 glc
	global_load_dwordx2 v[4:5], v3, s[2:3]
	s_waitcnt vmcnt(2)
	v_readfirstlane_b32 s18, v0
	v_readfirstlane_b32 s19, v1
	s_add_u32 s20, s18, 1
	s_addc_u32 s21, s19, 0
	s_add_u32 s0, s20, s14
	s_addc_u32 s1, s21, s15
	s_cmp_eq_u64 s[0:1], 0
	s_cselect_b32 s1, s21, s1
	s_cselect_b32 s0, s20, s0
	s_and_b64 s[14:15], s[0:1], s[18:19]
	s_mul_i32 s15, s15, 24
	s_mul_hi_u32 s18, s14, 24
	s_mul_i32 s14, s14, 24
	s_add_i32 s15, s18, s15
	v_mov_b32_e32 v1, s15
	s_waitcnt vmcnt(0)
	v_add_co_u32_e32 v0, vcc, s14, v4
	v_addc_co_u32_e32 v1, vcc, v5, v1, vcc
	v_mov_b32_e32 v26, s0
	global_store_dwordx2 v[0:1], v[28:29], off
	v_mov_b32_e32 v27, s1
	s_waitcnt vmcnt(0)
	global_atomic_cmpswap_x2 v[26:27], v3, v[26:29], s[2:3] offset:24 glc
	s_waitcnt vmcnt(0)
	v_cmp_ne_u64_e32 vcc, v[26:27], v[28:29]
	s_and_b64 exec, exec, vcc
	s_cbranch_execz .LBB5_1096
; %bb.1094:                             ;   in Loop: Header=BB5_3 Depth=1
	s_mov_b64 s[14:15], 0
.LBB5_1095:                             ;   Parent Loop BB5_3 Depth=1
                                        ; =>  This Inner Loop Header: Depth=2
	s_sleep 1
	global_store_dwordx2 v[0:1], v[26:27], off
	v_mov_b32_e32 v24, s0
	v_mov_b32_e32 v25, s1
	s_waitcnt vmcnt(0)
	global_atomic_cmpswap_x2 v[4:5], v3, v[24:27], s[2:3] offset:24 glc
	s_waitcnt vmcnt(0)
	v_cmp_eq_u64_e32 vcc, v[4:5], v[26:27]
	v_mov_b32_e32 v27, v5
	s_or_b64 s[14:15], vcc, s[14:15]
	v_mov_b32_e32 v26, v4
	s_andn2_b64 exec, exec, s[14:15]
	s_cbranch_execnz .LBB5_1095
.LBB5_1096:                             ;   in Loop: Header=BB5_3 Depth=1
	s_or_b64 exec, exec, s[16:17]
.LBB5_1097:                             ;   in Loop: Header=BB5_3 Depth=1
	v_readfirstlane_b32 s0, v47
	s_waitcnt vmcnt(0)
	v_mov_b32_e32 v0, 0
	v_mov_b32_e32 v1, 0
	v_cmp_eq_u32_e64 s[0:1], s0, v47
	s_and_saveexec_b64 s[14:15], s[0:1]
	s_cbranch_execz .LBB5_1103
; %bb.1098:                             ;   in Loop: Header=BB5_3 Depth=1
	global_load_dwordx2 v[26:27], v3, s[2:3] offset:24 glc
	s_waitcnt vmcnt(0)
	buffer_wbinvl1_vol
	global_load_dwordx2 v[0:1], v3, s[2:3] offset:40
	global_load_dwordx2 v[4:5], v3, s[2:3]
	s_waitcnt vmcnt(1)
	v_and_b32_e32 v0, v0, v26
	v_and_b32_e32 v1, v1, v27
	v_mul_lo_u32 v1, v1, 24
	v_mul_hi_u32 v2, v0, 24
	v_mul_lo_u32 v0, v0, 24
	v_add_u32_e32 v1, v2, v1
	s_waitcnt vmcnt(0)
	v_add_co_u32_e32 v0, vcc, v4, v0
	v_addc_co_u32_e32 v1, vcc, v5, v1, vcc
	global_load_dwordx2 v[24:25], v[0:1], off glc
	s_waitcnt vmcnt(0)
	global_atomic_cmpswap_x2 v[0:1], v3, v[24:27], s[2:3] offset:24 glc
	s_waitcnt vmcnt(0)
	buffer_wbinvl1_vol
	v_cmp_ne_u64_e32 vcc, v[0:1], v[26:27]
	s_and_saveexec_b64 s[16:17], vcc
	s_cbranch_execz .LBB5_1102
; %bb.1099:                             ;   in Loop: Header=BB5_3 Depth=1
	s_mov_b64 s[18:19], 0
.LBB5_1100:                             ;   Parent Loop BB5_3 Depth=1
                                        ; =>  This Inner Loop Header: Depth=2
	s_sleep 1
	global_load_dwordx2 v[4:5], v3, s[2:3] offset:40
	global_load_dwordx2 v[9:10], v3, s[2:3]
	v_mov_b32_e32 v27, v1
	v_mov_b32_e32 v26, v0
	s_waitcnt vmcnt(1)
	v_and_b32_e32 v0, v4, v26
	s_waitcnt vmcnt(0)
	v_mad_u64_u32 v[0:1], s[20:21], v0, 24, v[9:10]
	v_and_b32_e32 v2, v5, v27
	v_mad_u64_u32 v[1:2], s[20:21], v2, 24, v[1:2]
	global_load_dwordx2 v[24:25], v[0:1], off glc
	s_waitcnt vmcnt(0)
	global_atomic_cmpswap_x2 v[0:1], v3, v[24:27], s[2:3] offset:24 glc
	s_waitcnt vmcnt(0)
	buffer_wbinvl1_vol
	v_cmp_eq_u64_e32 vcc, v[0:1], v[26:27]
	s_or_b64 s[18:19], vcc, s[18:19]
	s_andn2_b64 exec, exec, s[18:19]
	s_cbranch_execnz .LBB5_1100
; %bb.1101:                             ;   in Loop: Header=BB5_3 Depth=1
	s_or_b64 exec, exec, s[18:19]
.LBB5_1102:                             ;   in Loop: Header=BB5_3 Depth=1
	s_or_b64 exec, exec, s[16:17]
.LBB5_1103:                             ;   in Loop: Header=BB5_3 Depth=1
	s_or_b64 exec, exec, s[14:15]
	global_load_dwordx2 v[4:5], v3, s[2:3] offset:40
	global_load_dwordx4 v[26:29], v3, s[2:3]
	v_readfirstlane_b32 s15, v1
	v_readfirstlane_b32 s14, v0
	s_mov_b64 s[16:17], exec
	s_waitcnt vmcnt(1)
	v_readfirstlane_b32 s18, v4
	v_readfirstlane_b32 s19, v5
	s_and_b64 s[18:19], s[18:19], s[14:15]
	s_mul_i32 s20, s19, 24
	s_mul_hi_u32 s21, s18, 24
	s_mul_i32 s22, s18, 24
	s_add_i32 s20, s21, s20
	v_mov_b32_e32 v1, s20
	s_waitcnt vmcnt(0)
	v_add_co_u32_e32 v0, vcc, s22, v26
	v_addc_co_u32_e32 v1, vcc, v27, v1, vcc
	s_and_saveexec_b64 s[20:21], s[0:1]
	s_cbranch_execz .LBB5_1105
; %bb.1104:                             ;   in Loop: Header=BB5_3 Depth=1
	v_mov_b32_e32 v4, s16
	v_mov_b32_e32 v5, s17
	global_store_dwordx4 v[0:1], v[4:7], off offset:8
.LBB5_1105:                             ;   in Loop: Header=BB5_3 Depth=1
	s_or_b64 exec, exec, s[20:21]
	s_lshl_b64 s[16:17], s[18:19], 12
	v_mov_b32_e32 v2, s17
	v_add_co_u32_e32 v11, vcc, s16, v28
	v_addc_co_u32_e32 v28, vcc, v29, v2, vcc
	v_and_or_b32 v22, v22, s30, 34
	v_mov_b32_e32 v24, v46
	v_mov_b32_e32 v25, v3
	v_readfirstlane_b32 s16, v11
	v_readfirstlane_b32 s17, v28
	s_nop 4
	global_store_dwordx4 v53, v[22:25], s[16:17]
	s_nop 0
	v_mov_b32_e32 v23, s11
	v_mov_b32_e32 v22, s10
	;; [unrolled: 1-line block ×4, first 2 shown]
	global_store_dwordx4 v53, v[20:23], s[16:17] offset:16
	global_store_dwordx4 v53, v[20:23], s[16:17] offset:32
	;; [unrolled: 1-line block ×3, first 2 shown]
	s_and_saveexec_b64 s[16:17], s[0:1]
	s_cbranch_execz .LBB5_1113
; %bb.1106:                             ;   in Loop: Header=BB5_3 Depth=1
	global_load_dwordx2 v[24:25], v3, s[2:3] offset:32 glc
	global_load_dwordx2 v[4:5], v3, s[2:3] offset:40
	v_mov_b32_e32 v22, s14
	v_mov_b32_e32 v23, s15
	s_waitcnt vmcnt(0)
	v_readfirstlane_b32 s18, v4
	v_readfirstlane_b32 s19, v5
	s_and_b64 s[18:19], s[18:19], s[14:15]
	s_mul_i32 s19, s19, 24
	s_mul_hi_u32 s20, s18, 24
	s_mul_i32 s18, s18, 24
	s_add_i32 s19, s20, s19
	v_mov_b32_e32 v2, s19
	v_add_co_u32_e32 v4, vcc, s18, v26
	v_addc_co_u32_e32 v5, vcc, v27, v2, vcc
	global_store_dwordx2 v[4:5], v[24:25], off
	s_waitcnt vmcnt(0)
	global_atomic_cmpswap_x2 v[22:23], v3, v[22:25], s[2:3] offset:32 glc
	s_waitcnt vmcnt(0)
	v_cmp_ne_u64_e32 vcc, v[22:23], v[24:25]
	s_and_saveexec_b64 s[18:19], vcc
	s_cbranch_execz .LBB5_1109
; %bb.1107:                             ;   in Loop: Header=BB5_3 Depth=1
	s_mov_b64 s[20:21], 0
.LBB5_1108:                             ;   Parent Loop BB5_3 Depth=1
                                        ; =>  This Inner Loop Header: Depth=2
	s_sleep 1
	global_store_dwordx2 v[4:5], v[22:23], off
	v_mov_b32_e32 v20, s14
	v_mov_b32_e32 v21, s15
	s_waitcnt vmcnt(0)
	global_atomic_cmpswap_x2 v[9:10], v3, v[20:23], s[2:3] offset:32 glc
	s_waitcnt vmcnt(0)
	v_cmp_eq_u64_e32 vcc, v[9:10], v[22:23]
	v_mov_b32_e32 v23, v10
	s_or_b64 s[20:21], vcc, s[20:21]
	v_mov_b32_e32 v22, v9
	s_andn2_b64 exec, exec, s[20:21]
	s_cbranch_execnz .LBB5_1108
.LBB5_1109:                             ;   in Loop: Header=BB5_3 Depth=1
	s_or_b64 exec, exec, s[18:19]
	global_load_dwordx2 v[4:5], v3, s[2:3] offset:16
	s_mov_b64 s[20:21], exec
	v_mbcnt_lo_u32_b32 v2, s20, 0
	v_mbcnt_hi_u32_b32 v2, s21, v2
	v_cmp_eq_u32_e32 vcc, 0, v2
	s_and_saveexec_b64 s[18:19], vcc
	s_cbranch_execz .LBB5_1111
; %bb.1110:                             ;   in Loop: Header=BB5_3 Depth=1
	s_bcnt1_i32_b64 s20, s[20:21]
	v_mov_b32_e32 v2, s20
	s_waitcnt vmcnt(0)
	global_atomic_add_x2 v[4:5], v[2:3], off offset:8
.LBB5_1111:                             ;   in Loop: Header=BB5_3 Depth=1
	s_or_b64 exec, exec, s[18:19]
	s_waitcnt vmcnt(0)
	global_load_dwordx2 v[9:10], v[4:5], off offset:16
	s_waitcnt vmcnt(0)
	v_cmp_eq_u64_e32 vcc, 0, v[9:10]
	s_cbranch_vccnz .LBB5_1113
; %bb.1112:                             ;   in Loop: Header=BB5_3 Depth=1
	global_load_dword v2, v[4:5], off offset:24
	s_waitcnt vmcnt(0)
	v_readfirstlane_b32 s18, v2
	s_and_b32 m0, s18, 0xffffff
	global_store_dwordx2 v[9:10], v[2:3], off
	s_sendmsg sendmsg(MSG_INTERRUPT)
.LBB5_1113:                             ;   in Loop: Header=BB5_3 Depth=1
	s_or_b64 exec, exec, s[16:17]
	v_add_co_u32_e32 v4, vcc, v11, v53
	v_addc_co_u32_e32 v5, vcc, 0, v28, vcc
	s_branch .LBB5_1117
.LBB5_1114:                             ;   in Loop: Header=BB5_1117 Depth=2
	s_or_b64 exec, exec, s[16:17]
	v_readfirstlane_b32 s16, v2
	s_cmp_eq_u32 s16, 0
	s_cbranch_scc1 .LBB5_1116
; %bb.1115:                             ;   in Loop: Header=BB5_1117 Depth=2
	s_sleep 1
	s_cbranch_execnz .LBB5_1117
	s_branch .LBB5_1119
.LBB5_1116:                             ;   in Loop: Header=BB5_3 Depth=1
	s_branch .LBB5_1119
.LBB5_1117:                             ;   Parent Loop BB5_3 Depth=1
                                        ; =>  This Inner Loop Header: Depth=2
	v_mov_b32_e32 v2, 1
	s_and_saveexec_b64 s[16:17], s[0:1]
	s_cbranch_execz .LBB5_1114
; %bb.1118:                             ;   in Loop: Header=BB5_1117 Depth=2
	global_load_dword v2, v[0:1], off offset:20 glc
	s_waitcnt vmcnt(0)
	buffer_wbinvl1_vol
	v_and_b32_e32 v2, 1, v2
	s_branch .LBB5_1114
.LBB5_1119:                             ;   in Loop: Header=BB5_3 Depth=1
	global_load_dwordx2 v[0:1], v[4:5], off
	s_and_saveexec_b64 s[16:17], s[0:1]
	s_cbranch_execz .LBB5_2
; %bb.1120:                             ;   in Loop: Header=BB5_3 Depth=1
	global_load_dwordx2 v[1:2], v3, s[2:3] offset:40
	global_load_dwordx2 v[24:25], v3, s[2:3] offset:24 glc
	global_load_dwordx2 v[4:5], v3, s[2:3]
	s_waitcnt vmcnt(2)
	v_readfirstlane_b32 s18, v1
	v_readfirstlane_b32 s19, v2
	s_add_u32 s20, s18, 1
	s_addc_u32 s21, s19, 0
	s_add_u32 s0, s20, s14
	s_addc_u32 s1, s21, s15
	s_cmp_eq_u64 s[0:1], 0
	s_cselect_b32 s1, s21, s1
	s_cselect_b32 s0, s20, s0
	s_and_b64 s[14:15], s[0:1], s[18:19]
	s_mul_i32 s15, s15, 24
	s_mul_hi_u32 s18, s14, 24
	s_mul_i32 s14, s14, 24
	s_add_i32 s15, s18, s15
	v_mov_b32_e32 v2, s15
	s_waitcnt vmcnt(0)
	v_add_co_u32_e32 v1, vcc, s14, v4
	v_addc_co_u32_e32 v2, vcc, v5, v2, vcc
	v_mov_b32_e32 v22, s0
	global_store_dwordx2 v[1:2], v[24:25], off
	v_mov_b32_e32 v23, s1
	s_waitcnt vmcnt(0)
	global_atomic_cmpswap_x2 v[22:23], v3, v[22:25], s[2:3] offset:24 glc
	s_waitcnt vmcnt(0)
	v_cmp_ne_u64_e32 vcc, v[22:23], v[24:25]
	s_and_b64 exec, exec, vcc
	s_cbranch_execz .LBB5_2
; %bb.1121:                             ;   in Loop: Header=BB5_3 Depth=1
	s_mov_b64 s[14:15], 0
.LBB5_1122:                             ;   Parent Loop BB5_3 Depth=1
                                        ; =>  This Inner Loop Header: Depth=2
	s_sleep 1
	global_store_dwordx2 v[1:2], v[22:23], off
	v_mov_b32_e32 v20, s0
	v_mov_b32_e32 v21, s1
	s_waitcnt vmcnt(0)
	global_atomic_cmpswap_x2 v[4:5], v3, v[20:23], s[2:3] offset:24 glc
	s_waitcnt vmcnt(0)
	v_cmp_eq_u64_e32 vcc, v[4:5], v[22:23]
	v_mov_b32_e32 v23, v5
	s_or_b64 s[14:15], vcc, s[14:15]
	v_mov_b32_e32 v22, v4
	s_andn2_b64 exec, exec, s[14:15]
	s_cbranch_execnz .LBB5_1122
	s_branch .LBB5_2
.LBB5_1123:
	v_mov_b32_e32 v52, 0
.LBB5_1124:
	s_load_dwordx2 s[0:1], s[6:7], 0x8
	v_mov_b32_e32 v43, 0
	v_lshlrev_b64 v[0:1], 2, v[42:43]
	s_waitcnt lgkmcnt(0)
	v_mov_b32_e32 v2, s1
	v_add_co_u32_e32 v0, vcc, s0, v0
	v_addc_co_u32_e32 v1, vcc, v2, v1, vcc
	global_store_dword v[0:1], v52, off
	s_endpgm
	.section	.rodata,"a",@progbits
	.p2align	6, 0x0
	.amdhsa_kernel _ZN19hipPrintfStressTest28kernel_dependent_calc_atomicEjPi
		.amdhsa_group_segment_fixed_size 16384
		.amdhsa_private_segment_fixed_size 0
		.amdhsa_kernarg_size 272
		.amdhsa_user_sgpr_count 8
		.amdhsa_user_sgpr_private_segment_buffer 1
		.amdhsa_user_sgpr_dispatch_ptr 1
		.amdhsa_user_sgpr_queue_ptr 0
		.amdhsa_user_sgpr_kernarg_segment_ptr 1
		.amdhsa_user_sgpr_dispatch_id 0
		.amdhsa_user_sgpr_flat_scratch_init 0
		.amdhsa_user_sgpr_private_segment_size 0
		.amdhsa_uses_dynamic_stack 0
		.amdhsa_system_sgpr_private_segment_wavefront_offset 0
		.amdhsa_system_sgpr_workgroup_id_x 1
		.amdhsa_system_sgpr_workgroup_id_y 0
		.amdhsa_system_sgpr_workgroup_id_z 0
		.amdhsa_system_sgpr_workgroup_info 0
		.amdhsa_system_vgpr_workitem_id 2
		.amdhsa_next_free_vgpr 54
		.amdhsa_next_free_sgpr 34
		.amdhsa_reserve_vcc 1
		.amdhsa_reserve_flat_scratch 0
		.amdhsa_float_round_mode_32 0
		.amdhsa_float_round_mode_16_64 0
		.amdhsa_float_denorm_mode_32 3
		.amdhsa_float_denorm_mode_16_64 3
		.amdhsa_dx10_clamp 1
		.amdhsa_ieee_mode 1
		.amdhsa_fp16_overflow 0
		.amdhsa_exception_fp_ieee_invalid_op 0
		.amdhsa_exception_fp_denorm_src 0
		.amdhsa_exception_fp_ieee_div_zero 0
		.amdhsa_exception_fp_ieee_overflow 0
		.amdhsa_exception_fp_ieee_underflow 0
		.amdhsa_exception_fp_ieee_inexact 0
		.amdhsa_exception_int_div_zero 0
	.end_amdhsa_kernel
	.text
.Lfunc_end5:
	.size	_ZN19hipPrintfStressTest28kernel_dependent_calc_atomicEjPi, .Lfunc_end5-_ZN19hipPrintfStressTest28kernel_dependent_calc_atomicEjPi
                                        ; -- End function
	.set _ZN19hipPrintfStressTest28kernel_dependent_calc_atomicEjPi.num_vgpr, 54
	.set _ZN19hipPrintfStressTest28kernel_dependent_calc_atomicEjPi.num_agpr, 0
	.set _ZN19hipPrintfStressTest28kernel_dependent_calc_atomicEjPi.numbered_sgpr, 34
	.set _ZN19hipPrintfStressTest28kernel_dependent_calc_atomicEjPi.num_named_barrier, 0
	.set _ZN19hipPrintfStressTest28kernel_dependent_calc_atomicEjPi.private_seg_size, 0
	.set _ZN19hipPrintfStressTest28kernel_dependent_calc_atomicEjPi.uses_vcc, 1
	.set _ZN19hipPrintfStressTest28kernel_dependent_calc_atomicEjPi.uses_flat_scratch, 0
	.set _ZN19hipPrintfStressTest28kernel_dependent_calc_atomicEjPi.has_dyn_sized_stack, 0
	.set _ZN19hipPrintfStressTest28kernel_dependent_calc_atomicEjPi.has_recursion, 0
	.set _ZN19hipPrintfStressTest28kernel_dependent_calc_atomicEjPi.has_indirect_call, 0
	.section	.AMDGPU.csdata,"",@progbits
; Kernel info:
; codeLenInByte = 36228
; TotalNumSgprs: 38
; NumVgprs: 54
; ScratchSize: 0
; MemoryBound: 0
; FloatMode: 240
; IeeeMode: 1
; LDSByteSize: 16384 bytes/workgroup (compile time only)
; SGPRBlocks: 4
; VGPRBlocks: 13
; NumSGPRsForWavesPerEU: 38
; NumVGPRsForWavesPerEU: 54
; Occupancy: 4
; WaveLimiterHint : 1
; COMPUTE_PGM_RSRC2:SCRATCH_EN: 0
; COMPUTE_PGM_RSRC2:USER_SGPR: 8
; COMPUTE_PGM_RSRC2:TRAP_HANDLER: 0
; COMPUTE_PGM_RSRC2:TGID_X_EN: 1
; COMPUTE_PGM_RSRC2:TGID_Y_EN: 0
; COMPUTE_PGM_RSRC2:TGID_Z_EN: 0
; COMPUTE_PGM_RSRC2:TIDIG_COMP_CNT: 2
	.text
	.protected	_ZN19hipPrintfStressTest26kernel_decimal_calculationEji ; -- Begin function _ZN19hipPrintfStressTest26kernel_decimal_calculationEji
	.globl	_ZN19hipPrintfStressTest26kernel_decimal_calculationEji
	.p2align	8
	.type	_ZN19hipPrintfStressTest26kernel_decimal_calculationEji,@function
_ZN19hipPrintfStressTest26kernel_decimal_calculationEji: ; @_ZN19hipPrintfStressTest26kernel_decimal_calculationEji
; %bb.0:
	s_load_dwordx2 s[8:9], s[4:5], 0x0
	s_waitcnt lgkmcnt(0)
	s_cmp_lt_i32 s8, 1
	s_cbranch_scc1 .LBB6_364
; %bb.1:
	s_cmp_gt_i32 s9, -1
	s_cselect_b64 s[0:1], -1, 0
	s_add_u32 s10, s4, 8
	s_addc_u32 s11, s5, 0
	s_getpc_b64 s[2:3]
	s_add_u32 s2, s2, .str.9@rel32@lo+4
	s_addc_u32 s3, s3, .str.9@rel32@hi+12
	s_cmp_lg_u64 s[2:3], 0
	s_cselect_b64 s[12:13], -1, 0
	s_getpc_b64 s[2:3]
	s_add_u32 s2, s2, .str.8@rel32@lo+4
	s_addc_u32 s3, s3, .str.8@rel32@hi+12
	v_cndmask_b32_e64 v0, 0, 1, s[0:1]
	s_mov_b32 s4, 0
	s_cmp_lg_u64 s[2:3], 0
	v_cmp_ne_u32_e64 s[0:1], 1, v0
	v_mbcnt_lo_u32_b32 v0, -1, 0
	s_cselect_b64 s[14:15], -1, 0
	v_mov_b32_e32 v2, 0
	s_mov_b32 s5, s4
	s_mov_b32 s6, s4
	;; [unrolled: 1-line block ×3, first 2 shown]
	s_movk_i32 s33, 0xff1f
	v_mov_b32_e32 v5, 0x54411744
	v_mov_b32_e32 v6, 0x400921fb
	s_movk_i32 s34, 0xff1d
	v_mov_b32_e32 v9, 0x1cf5e000
	v_mov_b32_e32 v10, 0x4286dbac
	v_mbcnt_hi_u32_b32 v37, -1, v0
	v_mov_b32_e32 v13, 2
	v_mov_b32_e32 v14, 1
	;; [unrolled: 1-line block ×3, first 2 shown]
	s_mov_b32 s35, s4
	s_branch .LBB6_3
.LBB6_2:                                ;   in Loop: Header=BB6_3 Depth=1
	s_add_i32 s35, s35, 1
	s_cmp_eq_u32 s35, s8
	s_cbranch_scc1 .LBB6_364
.LBB6_3:                                ; =>This Loop Header: Depth=1
                                        ;     Child Loop BB6_6 Depth 2
                                        ;       Child Loop BB6_9 Depth 3
                                        ;       Child Loop BB6_17 Depth 3
	;; [unrolled: 1-line block ×9, first 2 shown]
                                        ;         Child Loop BB6_38 Depth 4
                                        ;         Child Loop BB6_46 Depth 4
	;; [unrolled: 1-line block ×11, first 2 shown]
                                        ;       Child Loop BB6_236 Depth 3
                                        ;       Child Loop BB6_244 Depth 3
	;; [unrolled: 1-line block ×5, first 2 shown]
                                        ;         Child Loop BB6_124 Depth 4
                                        ;         Child Loop BB6_132 Depth 4
	;; [unrolled: 1-line block ×11, first 2 shown]
                                        ;       Child Loop BB6_263 Depth 3
                                        ;       Child Loop BB6_271 Depth 3
                                        ;       Child Loop BB6_280 Depth 3
                                        ;       Child Loop BB6_285 Depth 3
                                        ;       Child Loop BB6_289 Depth 3
                                        ;       Child Loop BB6_297 Depth 3
                                        ;       Child Loop BB6_306 Depth 3
                                        ;       Child Loop BB6_311 Depth 3
                                        ;       Child Loop BB6_315 Depth 3
                                        ;       Child Loop BB6_323 Depth 3
                                        ;       Child Loop BB6_332 Depth 3
                                        ;       Child Loop BB6_337 Depth 3
                                        ;       Child Loop BB6_341 Depth 3
                                        ;       Child Loop BB6_349 Depth 3
                                        ;       Child Loop BB6_358 Depth 3
                                        ;       Child Loop BB6_363 Depth 3
	s_and_b64 vcc, exec, s[0:1]
	s_cbranch_vccnz .LBB6_2
; %bb.4:                                ;   in Loop: Header=BB6_3 Depth=1
	s_load_dwordx2 s[16:17], s[10:11], 0x50
	s_mov_b32 s36, 0
	s_branch .LBB6_6
.LBB6_5:                                ;   in Loop: Header=BB6_6 Depth=2
	s_or_b64 exec, exec, s[20:21]
	s_add_i32 s2, s36, 1
	s_cmp_lg_u32 s36, s9
	s_mov_b32 s36, s2
	s_cbranch_scc0 .LBB6_2
.LBB6_6:                                ;   Parent Loop BB6_3 Depth=1
                                        ; =>  This Loop Header: Depth=2
                                        ;       Child Loop BB6_9 Depth 3
                                        ;       Child Loop BB6_17 Depth 3
	;; [unrolled: 1-line block ×9, first 2 shown]
                                        ;         Child Loop BB6_38 Depth 4
                                        ;         Child Loop BB6_46 Depth 4
	;; [unrolled: 1-line block ×11, first 2 shown]
                                        ;       Child Loop BB6_236 Depth 3
                                        ;       Child Loop BB6_244 Depth 3
	;; [unrolled: 1-line block ×5, first 2 shown]
                                        ;         Child Loop BB6_124 Depth 4
                                        ;         Child Loop BB6_132 Depth 4
	;; [unrolled: 1-line block ×11, first 2 shown]
                                        ;       Child Loop BB6_263 Depth 3
                                        ;       Child Loop BB6_271 Depth 3
	;; [unrolled: 1-line block ×16, first 2 shown]
	v_readfirstlane_b32 s2, v37
	v_mov_b32_e32 v3, 0
	v_mov_b32_e32 v4, 0
	v_cmp_eq_u32_e64 s[2:3], s2, v37
	s_and_saveexec_b64 s[18:19], s[2:3]
	s_cbranch_execz .LBB6_12
; %bb.7:                                ;   in Loop: Header=BB6_6 Depth=2
	s_waitcnt lgkmcnt(0)
	global_load_dwordx2 v[17:18], v2, s[16:17] offset:24 glc
	s_waitcnt vmcnt(0)
	buffer_wbinvl1_vol
	global_load_dwordx2 v[3:4], v2, s[16:17] offset:40
	global_load_dwordx2 v[7:8], v2, s[16:17]
	s_waitcnt vmcnt(1)
	v_and_b32_e32 v1, v3, v17
	v_and_b32_e32 v3, v4, v18
	v_mul_lo_u32 v3, v3, 24
	v_mul_hi_u32 v4, v1, 24
	v_mul_lo_u32 v1, v1, 24
	v_add_u32_e32 v4, v4, v3
	s_waitcnt vmcnt(0)
	v_add_co_u32_e32 v3, vcc, v7, v1
	v_addc_co_u32_e32 v4, vcc, v8, v4, vcc
	global_load_dwordx2 v[15:16], v[3:4], off glc
	s_waitcnt vmcnt(0)
	global_atomic_cmpswap_x2 v[3:4], v2, v[15:18], s[16:17] offset:24 glc
	s_waitcnt vmcnt(0)
	buffer_wbinvl1_vol
	v_cmp_ne_u64_e32 vcc, v[3:4], v[17:18]
	s_and_saveexec_b64 s[20:21], vcc
	s_cbranch_execz .LBB6_11
; %bb.8:                                ;   in Loop: Header=BB6_6 Depth=2
	s_mov_b64 s[22:23], 0
.LBB6_9:                                ;   Parent Loop BB6_3 Depth=1
                                        ;     Parent Loop BB6_6 Depth=2
                                        ; =>    This Inner Loop Header: Depth=3
	s_sleep 1
	global_load_dwordx2 v[7:8], v2, s[16:17] offset:40
	global_load_dwordx2 v[11:12], v2, s[16:17]
	v_mov_b32_e32 v18, v4
	v_mov_b32_e32 v17, v3
	s_waitcnt vmcnt(1)
	v_and_b32_e32 v1, v7, v17
	s_waitcnt vmcnt(0)
	v_mad_u64_u32 v[3:4], s[24:25], v1, 24, v[11:12]
	v_and_b32_e32 v7, v8, v18
	v_mov_b32_e32 v1, v4
	v_mad_u64_u32 v[7:8], s[24:25], v7, 24, v[1:2]
	v_mov_b32_e32 v4, v7
	global_load_dwordx2 v[15:16], v[3:4], off glc
	s_waitcnt vmcnt(0)
	global_atomic_cmpswap_x2 v[3:4], v2, v[15:18], s[16:17] offset:24 glc
	s_waitcnt vmcnt(0)
	buffer_wbinvl1_vol
	v_cmp_eq_u64_e32 vcc, v[3:4], v[17:18]
	s_or_b64 s[22:23], vcc, s[22:23]
	s_andn2_b64 exec, exec, s[22:23]
	s_cbranch_execnz .LBB6_9
; %bb.10:                               ;   in Loop: Header=BB6_6 Depth=2
	s_or_b64 exec, exec, s[22:23]
.LBB6_11:                               ;   in Loop: Header=BB6_6 Depth=2
	s_or_b64 exec, exec, s[20:21]
.LBB6_12:                               ;   in Loop: Header=BB6_6 Depth=2
	s_or_b64 exec, exec, s[18:19]
	s_waitcnt lgkmcnt(0)
	global_load_dwordx2 v[7:8], v2, s[16:17] offset:40
	global_load_dwordx4 v[15:18], v2, s[16:17]
	v_readfirstlane_b32 s19, v4
	v_readfirstlane_b32 s18, v3
	s_mov_b64 s[20:21], exec
	s_waitcnt vmcnt(1)
	v_readfirstlane_b32 s22, v7
	v_readfirstlane_b32 s23, v8
	s_and_b64 s[22:23], s[22:23], s[18:19]
	s_mul_i32 s24, s23, 24
	s_mul_hi_u32 s25, s22, 24
	s_mul_i32 s26, s22, 24
	s_add_i32 s24, s25, s24
	v_mov_b32_e32 v1, s24
	s_waitcnt vmcnt(0)
	v_add_co_u32_e32 v7, vcc, s26, v15
	v_addc_co_u32_e32 v8, vcc, v16, v1, vcc
	s_and_saveexec_b64 s[24:25], s[2:3]
	s_cbranch_execz .LBB6_14
; %bb.13:                               ;   in Loop: Header=BB6_6 Depth=2
	v_mov_b32_e32 v11, s20
	v_mov_b32_e32 v12, s21
	global_store_dwordx4 v[7:8], v[11:14], off offset:8
.LBB6_14:                               ;   in Loop: Header=BB6_6 Depth=2
	s_or_b64 exec, exec, s[24:25]
	s_lshl_b64 s[20:21], s[22:23], 12
	v_mov_b32_e32 v1, s21
	v_add_co_u32_e32 v19, vcc, s20, v17
	v_addc_co_u32_e32 v20, vcc, v18, v1, vcc
	v_mov_b32_e32 v24, s7
	v_lshlrev_b32_e32 v38, 6, v37
	v_mov_b32_e32 v1, v2
	v_mov_b32_e32 v3, v2
	v_readfirstlane_b32 s20, v19
	v_readfirstlane_b32 s21, v20
	v_mov_b32_e32 v23, s6
	v_mov_b32_e32 v22, s5
	;; [unrolled: 1-line block ×3, first 2 shown]
	s_nop 1
	global_store_dwordx4 v38, v[0:3], s[20:21]
	global_store_dwordx4 v38, v[21:24], s[20:21] offset:16
	global_store_dwordx4 v38, v[21:24], s[20:21] offset:32
	;; [unrolled: 1-line block ×3, first 2 shown]
	s_and_saveexec_b64 s[20:21], s[2:3]
	s_cbranch_execz .LBB6_22
; %bb.15:                               ;   in Loop: Header=BB6_6 Depth=2
	global_load_dwordx2 v[23:24], v2, s[16:17] offset:32 glc
	global_load_dwordx2 v[3:4], v2, s[16:17] offset:40
	v_mov_b32_e32 v21, s18
	v_mov_b32_e32 v22, s19
	s_waitcnt vmcnt(0)
	v_readfirstlane_b32 s22, v3
	v_readfirstlane_b32 s23, v4
	s_and_b64 s[22:23], s[22:23], s[18:19]
	s_mul_i32 s23, s23, 24
	s_mul_hi_u32 s24, s22, 24
	s_mul_i32 s22, s22, 24
	s_add_i32 s23, s24, s23
	v_mov_b32_e32 v1, s23
	v_add_co_u32_e32 v3, vcc, s22, v15
	v_addc_co_u32_e32 v4, vcc, v16, v1, vcc
	global_store_dwordx2 v[3:4], v[23:24], off
	s_waitcnt vmcnt(0)
	global_atomic_cmpswap_x2 v[17:18], v2, v[21:24], s[16:17] offset:32 glc
	s_waitcnt vmcnt(0)
	v_cmp_ne_u64_e32 vcc, v[17:18], v[23:24]
	s_and_saveexec_b64 s[22:23], vcc
	s_cbranch_execz .LBB6_18
; %bb.16:                               ;   in Loop: Header=BB6_6 Depth=2
	s_mov_b64 s[24:25], 0
.LBB6_17:                               ;   Parent Loop BB6_3 Depth=1
                                        ;     Parent Loop BB6_6 Depth=2
                                        ; =>    This Inner Loop Header: Depth=3
	s_sleep 1
	global_store_dwordx2 v[3:4], v[17:18], off
	v_mov_b32_e32 v15, s18
	v_mov_b32_e32 v16, s19
	s_waitcnt vmcnt(0)
	global_atomic_cmpswap_x2 v[11:12], v2, v[15:18], s[16:17] offset:32 glc
	s_waitcnt vmcnt(0)
	v_cmp_eq_u64_e32 vcc, v[11:12], v[17:18]
	v_mov_b32_e32 v18, v12
	s_or_b64 s[24:25], vcc, s[24:25]
	v_mov_b32_e32 v17, v11
	s_andn2_b64 exec, exec, s[24:25]
	s_cbranch_execnz .LBB6_17
.LBB6_18:                               ;   in Loop: Header=BB6_6 Depth=2
	s_or_b64 exec, exec, s[22:23]
	global_load_dwordx2 v[3:4], v2, s[16:17] offset:16
	s_mov_b64 s[24:25], exec
	v_mbcnt_lo_u32_b32 v1, s24, 0
	v_mbcnt_hi_u32_b32 v1, s25, v1
	v_cmp_eq_u32_e32 vcc, 0, v1
	s_and_saveexec_b64 s[22:23], vcc
	s_cbranch_execz .LBB6_20
; %bb.19:                               ;   in Loop: Header=BB6_6 Depth=2
	s_bcnt1_i32_b64 s24, s[24:25]
	v_mov_b32_e32 v1, s24
	s_waitcnt vmcnt(0)
	global_atomic_add_x2 v[3:4], v[1:2], off offset:8
.LBB6_20:                               ;   in Loop: Header=BB6_6 Depth=2
	s_or_b64 exec, exec, s[22:23]
	s_waitcnt vmcnt(0)
	global_load_dwordx2 v[11:12], v[3:4], off offset:16
	s_waitcnt vmcnt(0)
	v_cmp_eq_u64_e32 vcc, 0, v[11:12]
	s_cbranch_vccnz .LBB6_22
; %bb.21:                               ;   in Loop: Header=BB6_6 Depth=2
	global_load_dword v1, v[3:4], off offset:24
	s_waitcnt vmcnt(0)
	v_readfirstlane_b32 s22, v1
	s_and_b32 m0, s22, 0xffffff
	global_store_dwordx2 v[11:12], v[1:2], off
	s_sendmsg sendmsg(MSG_INTERRUPT)
.LBB6_22:                               ;   in Loop: Header=BB6_6 Depth=2
	s_or_b64 exec, exec, s[20:21]
	v_add_co_u32_e32 v3, vcc, v19, v38
	v_addc_co_u32_e32 v4, vcc, 0, v20, vcc
	s_branch .LBB6_26
.LBB6_23:                               ;   in Loop: Header=BB6_26 Depth=3
	s_or_b64 exec, exec, s[20:21]
	v_readfirstlane_b32 s20, v1
	s_cmp_eq_u32 s20, 0
	s_cbranch_scc1 .LBB6_25
; %bb.24:                               ;   in Loop: Header=BB6_26 Depth=3
	s_sleep 1
	s_cbranch_execnz .LBB6_26
	s_branch .LBB6_28
.LBB6_25:                               ;   in Loop: Header=BB6_6 Depth=2
	s_branch .LBB6_28
.LBB6_26:                               ;   Parent Loop BB6_3 Depth=1
                                        ;     Parent Loop BB6_6 Depth=2
                                        ; =>    This Inner Loop Header: Depth=3
	v_mov_b32_e32 v1, 1
	s_and_saveexec_b64 s[20:21], s[2:3]
	s_cbranch_execz .LBB6_23
; %bb.27:                               ;   in Loop: Header=BB6_26 Depth=3
	global_load_dword v1, v[7:8], off offset:20 glc
	s_waitcnt vmcnt(0)
	buffer_wbinvl1_vol
	v_and_b32_e32 v1, 1, v1
	s_branch .LBB6_23
.LBB6_28:                               ;   in Loop: Header=BB6_6 Depth=2
	global_load_dwordx2 v[19:20], v[3:4], off
	s_and_saveexec_b64 s[20:21], s[2:3]
	s_cbranch_execz .LBB6_32
; %bb.29:                               ;   in Loop: Header=BB6_6 Depth=2
	global_load_dwordx2 v[3:4], v2, s[16:17] offset:40
	global_load_dwordx2 v[23:24], v2, s[16:17] offset:24 glc
	global_load_dwordx2 v[7:8], v2, s[16:17]
	s_waitcnt vmcnt(2)
	v_readfirstlane_b32 s22, v3
	v_readfirstlane_b32 s23, v4
	s_add_u32 s24, s22, 1
	s_addc_u32 s25, s23, 0
	s_add_u32 s2, s24, s18
	s_addc_u32 s3, s25, s19
	s_cmp_eq_u64 s[2:3], 0
	s_cselect_b32 s3, s25, s3
	s_cselect_b32 s2, s24, s2
	s_and_b64 s[18:19], s[2:3], s[22:23]
	s_mul_i32 s19, s19, 24
	s_mul_hi_u32 s22, s18, 24
	s_mul_i32 s18, s18, 24
	s_add_i32 s19, s22, s19
	v_mov_b32_e32 v1, s19
	s_waitcnt vmcnt(0)
	v_add_co_u32_e32 v3, vcc, s18, v7
	v_addc_co_u32_e32 v4, vcc, v8, v1, vcc
	v_mov_b32_e32 v21, s2
	global_store_dwordx2 v[3:4], v[23:24], off
	v_mov_b32_e32 v22, s3
	s_waitcnt vmcnt(0)
	global_atomic_cmpswap_x2 v[17:18], v2, v[21:24], s[16:17] offset:24 glc
	s_waitcnt vmcnt(0)
	v_cmp_ne_u64_e32 vcc, v[17:18], v[23:24]
	s_and_b64 exec, exec, vcc
	s_cbranch_execz .LBB6_32
; %bb.30:                               ;   in Loop: Header=BB6_6 Depth=2
	s_mov_b64 s[18:19], 0
.LBB6_31:                               ;   Parent Loop BB6_3 Depth=1
                                        ;     Parent Loop BB6_6 Depth=2
                                        ; =>    This Inner Loop Header: Depth=3
	s_sleep 1
	global_store_dwordx2 v[3:4], v[17:18], off
	v_mov_b32_e32 v15, s2
	v_mov_b32_e32 v16, s3
	s_waitcnt vmcnt(0)
	global_atomic_cmpswap_x2 v[7:8], v2, v[15:18], s[16:17] offset:24 glc
	s_waitcnt vmcnt(0)
	v_cmp_eq_u64_e32 vcc, v[7:8], v[17:18]
	v_mov_b32_e32 v18, v8
	s_or_b64 s[18:19], vcc, s[18:19]
	v_mov_b32_e32 v17, v7
	s_andn2_b64 exec, exec, s[18:19]
	s_cbranch_execnz .LBB6_31
.LBB6_32:                               ;   in Loop: Header=BB6_6 Depth=2
	s_or_b64 exec, exec, s[20:21]
	s_and_b64 vcc, exec, s[12:13]
	s_cbranch_vccz .LBB6_204
; %bb.33:                               ;   in Loop: Header=BB6_6 Depth=2
	s_waitcnt vmcnt(0)
	v_and_b32_e32 v15, -3, v19
	v_mov_b32_e32 v16, v20
	s_mov_b64 s[20:21], 13
	s_getpc_b64 s[18:19]
	s_add_u32 s18, s18, .str.9@rel32@lo+4
	s_addc_u32 s19, s19, .str.9@rel32@hi+12
	s_branch .LBB6_35
.LBB6_34:                               ;   in Loop: Header=BB6_35 Depth=3
	s_or_b64 exec, exec, s[26:27]
	s_sub_u32 s20, s20, s22
	s_subb_u32 s21, s21, s23
	s_add_u32 s18, s18, s22
	s_addc_u32 s19, s19, s23
	s_cmp_lg_u64 s[20:21], 0
	s_cbranch_scc0 .LBB6_117
.LBB6_35:                               ;   Parent Loop BB6_3 Depth=1
                                        ;     Parent Loop BB6_6 Depth=2
                                        ; =>    This Loop Header: Depth=3
                                        ;         Child Loop BB6_38 Depth 4
                                        ;         Child Loop BB6_46 Depth 4
	;; [unrolled: 1-line block ×11, first 2 shown]
	v_cmp_lt_u64_e64 s[2:3], s[20:21], 56
	v_cmp_gt_u64_e64 s[24:25], s[20:21], 7
	s_and_b64 s[2:3], s[2:3], exec
	s_cselect_b32 s23, s21, 0
	s_cselect_b32 s22, s20, 56
	s_add_u32 s2, s18, 8
	s_addc_u32 s3, s19, 0
	s_and_b64 vcc, exec, s[24:25]
	s_cbranch_vccnz .LBB6_39
; %bb.36:                               ;   in Loop: Header=BB6_35 Depth=3
	s_cmp_eq_u64 s[20:21], 0
	s_cbranch_scc1 .LBB6_40
; %bb.37:                               ;   in Loop: Header=BB6_35 Depth=3
	v_mov_b32_e32 v17, 0
	s_lshl_b64 s[2:3], s[22:23], 3
	s_mov_b64 s[24:25], 0
	v_mov_b32_e32 v18, 0
	s_mov_b64 s[26:27], s[18:19]
.LBB6_38:                               ;   Parent Loop BB6_3 Depth=1
                                        ;     Parent Loop BB6_6 Depth=2
                                        ;       Parent Loop BB6_35 Depth=3
                                        ; =>      This Inner Loop Header: Depth=4
	global_load_ubyte v1, v2, s[26:27]
	s_waitcnt vmcnt(0)
	v_and_b32_e32 v1, 0xffff, v1
	v_lshlrev_b64 v[3:4], s24, v[1:2]
	s_add_u32 s24, s24, 8
	s_addc_u32 s25, s25, 0
	s_add_u32 s26, s26, 1
	s_addc_u32 s27, s27, 0
	v_or_b32_e32 v17, v3, v17
	s_cmp_lg_u32 s2, s24
	v_or_b32_e32 v18, v4, v18
	s_cbranch_scc1 .LBB6_38
	s_branch .LBB6_41
.LBB6_39:                               ;   in Loop: Header=BB6_35 Depth=3
	s_mov_b32 s28, 0
	s_branch .LBB6_42
.LBB6_40:                               ;   in Loop: Header=BB6_35 Depth=3
	v_mov_b32_e32 v17, 0
	v_mov_b32_e32 v18, 0
.LBB6_41:                               ;   in Loop: Header=BB6_35 Depth=3
	s_mov_b64 s[2:3], s[18:19]
	s_mov_b32 s28, 0
	s_cbranch_execnz .LBB6_43
.LBB6_42:                               ;   in Loop: Header=BB6_35 Depth=3
	global_load_dwordx2 v[17:18], v2, s[18:19]
	s_add_i32 s28, s22, -8
.LBB6_43:                               ;   in Loop: Header=BB6_35 Depth=3
	s_add_u32 s24, s2, 8
	s_addc_u32 s25, s3, 0
	s_cmp_gt_u32 s28, 7
	s_cbranch_scc1 .LBB6_47
; %bb.44:                               ;   in Loop: Header=BB6_35 Depth=3
	s_cmp_eq_u32 s28, 0
	s_cbranch_scc1 .LBB6_48
; %bb.45:                               ;   in Loop: Header=BB6_35 Depth=3
	v_mov_b32_e32 v21, 0
	s_mov_b64 s[24:25], 0
	v_mov_b32_e32 v22, 0
	s_mov_b64 s[26:27], 0
.LBB6_46:                               ;   Parent Loop BB6_3 Depth=1
                                        ;     Parent Loop BB6_6 Depth=2
                                        ;       Parent Loop BB6_35 Depth=3
                                        ; =>      This Inner Loop Header: Depth=4
	s_add_u32 s30, s2, s26
	s_addc_u32 s31, s3, s27
	global_load_ubyte v1, v2, s[30:31]
	s_add_u32 s26, s26, 1
	s_addc_u32 s27, s27, 0
	s_waitcnt vmcnt(0)
	v_and_b32_e32 v1, 0xffff, v1
	v_lshlrev_b64 v[3:4], s24, v[1:2]
	s_add_u32 s24, s24, 8
	s_addc_u32 s25, s25, 0
	v_or_b32_e32 v21, v3, v21
	s_cmp_lg_u32 s28, s26
	v_or_b32_e32 v22, v4, v22
	s_cbranch_scc1 .LBB6_46
	s_branch .LBB6_49
.LBB6_47:                               ;   in Loop: Header=BB6_35 Depth=3
                                        ; implicit-def: $vgpr21_vgpr22
	s_mov_b32 s29, 0
	s_branch .LBB6_50
.LBB6_48:                               ;   in Loop: Header=BB6_35 Depth=3
	v_mov_b32_e32 v21, 0
	v_mov_b32_e32 v22, 0
.LBB6_49:                               ;   in Loop: Header=BB6_35 Depth=3
	s_mov_b64 s[24:25], s[2:3]
	s_mov_b32 s29, 0
	s_cbranch_execnz .LBB6_51
.LBB6_50:                               ;   in Loop: Header=BB6_35 Depth=3
	global_load_dwordx2 v[21:22], v2, s[2:3]
	s_add_i32 s29, s28, -8
.LBB6_51:                               ;   in Loop: Header=BB6_35 Depth=3
	s_add_u32 s2, s24, 8
	s_addc_u32 s3, s25, 0
	s_cmp_gt_u32 s29, 7
	s_cbranch_scc1 .LBB6_55
; %bb.52:                               ;   in Loop: Header=BB6_35 Depth=3
	s_cmp_eq_u32 s29, 0
	s_cbranch_scc1 .LBB6_56
; %bb.53:                               ;   in Loop: Header=BB6_35 Depth=3
	v_mov_b32_e32 v23, 0
	s_mov_b64 s[2:3], 0
	v_mov_b32_e32 v24, 0
	s_mov_b64 s[26:27], 0
.LBB6_54:                               ;   Parent Loop BB6_3 Depth=1
                                        ;     Parent Loop BB6_6 Depth=2
                                        ;       Parent Loop BB6_35 Depth=3
                                        ; =>      This Inner Loop Header: Depth=4
	s_add_u32 s30, s24, s26
	s_addc_u32 s31, s25, s27
	global_load_ubyte v1, v2, s[30:31]
	s_add_u32 s26, s26, 1
	s_addc_u32 s27, s27, 0
	s_waitcnt vmcnt(0)
	v_and_b32_e32 v1, 0xffff, v1
	v_lshlrev_b64 v[3:4], s2, v[1:2]
	s_add_u32 s2, s2, 8
	s_addc_u32 s3, s3, 0
	v_or_b32_e32 v23, v3, v23
	s_cmp_lg_u32 s29, s26
	v_or_b32_e32 v24, v4, v24
	s_cbranch_scc1 .LBB6_54
	s_branch .LBB6_57
.LBB6_55:                               ;   in Loop: Header=BB6_35 Depth=3
	s_mov_b32 s28, 0
	s_branch .LBB6_58
.LBB6_56:                               ;   in Loop: Header=BB6_35 Depth=3
	v_mov_b32_e32 v23, 0
	v_mov_b32_e32 v24, 0
.LBB6_57:                               ;   in Loop: Header=BB6_35 Depth=3
	s_mov_b64 s[2:3], s[24:25]
	s_mov_b32 s28, 0
	s_cbranch_execnz .LBB6_59
.LBB6_58:                               ;   in Loop: Header=BB6_35 Depth=3
	global_load_dwordx2 v[23:24], v2, s[24:25]
	s_add_i32 s28, s29, -8
.LBB6_59:                               ;   in Loop: Header=BB6_35 Depth=3
	s_add_u32 s24, s2, 8
	s_addc_u32 s25, s3, 0
	s_cmp_gt_u32 s28, 7
	s_cbranch_scc1 .LBB6_63
; %bb.60:                               ;   in Loop: Header=BB6_35 Depth=3
	s_cmp_eq_u32 s28, 0
	s_cbranch_scc1 .LBB6_64
; %bb.61:                               ;   in Loop: Header=BB6_35 Depth=3
	v_mov_b32_e32 v25, 0
	s_mov_b64 s[24:25], 0
	v_mov_b32_e32 v26, 0
	s_mov_b64 s[26:27], 0
.LBB6_62:                               ;   Parent Loop BB6_3 Depth=1
                                        ;     Parent Loop BB6_6 Depth=2
                                        ;       Parent Loop BB6_35 Depth=3
                                        ; =>      This Inner Loop Header: Depth=4
	s_add_u32 s30, s2, s26
	s_addc_u32 s31, s3, s27
	global_load_ubyte v1, v2, s[30:31]
	s_add_u32 s26, s26, 1
	s_addc_u32 s27, s27, 0
	s_waitcnt vmcnt(0)
	v_and_b32_e32 v1, 0xffff, v1
	v_lshlrev_b64 v[3:4], s24, v[1:2]
	s_add_u32 s24, s24, 8
	s_addc_u32 s25, s25, 0
	v_or_b32_e32 v25, v3, v25
	s_cmp_lg_u32 s28, s26
	v_or_b32_e32 v26, v4, v26
	s_cbranch_scc1 .LBB6_62
	s_branch .LBB6_65
.LBB6_63:                               ;   in Loop: Header=BB6_35 Depth=3
                                        ; implicit-def: $vgpr25_vgpr26
	s_mov_b32 s29, 0
	s_branch .LBB6_66
.LBB6_64:                               ;   in Loop: Header=BB6_35 Depth=3
	v_mov_b32_e32 v25, 0
	v_mov_b32_e32 v26, 0
.LBB6_65:                               ;   in Loop: Header=BB6_35 Depth=3
	s_mov_b64 s[24:25], s[2:3]
	s_mov_b32 s29, 0
	s_cbranch_execnz .LBB6_67
.LBB6_66:                               ;   in Loop: Header=BB6_35 Depth=3
	global_load_dwordx2 v[25:26], v2, s[2:3]
	s_add_i32 s29, s28, -8
.LBB6_67:                               ;   in Loop: Header=BB6_35 Depth=3
	s_add_u32 s2, s24, 8
	s_addc_u32 s3, s25, 0
	s_cmp_gt_u32 s29, 7
	s_cbranch_scc1 .LBB6_71
; %bb.68:                               ;   in Loop: Header=BB6_35 Depth=3
	s_cmp_eq_u32 s29, 0
	s_cbranch_scc1 .LBB6_72
; %bb.69:                               ;   in Loop: Header=BB6_35 Depth=3
	v_mov_b32_e32 v27, 0
	s_mov_b64 s[2:3], 0
	v_mov_b32_e32 v28, 0
	s_mov_b64 s[26:27], 0
.LBB6_70:                               ;   Parent Loop BB6_3 Depth=1
                                        ;     Parent Loop BB6_6 Depth=2
                                        ;       Parent Loop BB6_35 Depth=3
                                        ; =>      This Inner Loop Header: Depth=4
	s_add_u32 s30, s24, s26
	s_addc_u32 s31, s25, s27
	global_load_ubyte v1, v2, s[30:31]
	s_add_u32 s26, s26, 1
	s_addc_u32 s27, s27, 0
	s_waitcnt vmcnt(0)
	v_and_b32_e32 v1, 0xffff, v1
	v_lshlrev_b64 v[3:4], s2, v[1:2]
	s_add_u32 s2, s2, 8
	s_addc_u32 s3, s3, 0
	v_or_b32_e32 v27, v3, v27
	s_cmp_lg_u32 s29, s26
	v_or_b32_e32 v28, v4, v28
	s_cbranch_scc1 .LBB6_70
	s_branch .LBB6_73
.LBB6_71:                               ;   in Loop: Header=BB6_35 Depth=3
	s_mov_b32 s28, 0
	s_branch .LBB6_74
.LBB6_72:                               ;   in Loop: Header=BB6_35 Depth=3
	v_mov_b32_e32 v27, 0
	v_mov_b32_e32 v28, 0
.LBB6_73:                               ;   in Loop: Header=BB6_35 Depth=3
	s_mov_b64 s[2:3], s[24:25]
	s_mov_b32 s28, 0
	s_cbranch_execnz .LBB6_75
.LBB6_74:                               ;   in Loop: Header=BB6_35 Depth=3
	global_load_dwordx2 v[27:28], v2, s[24:25]
	s_add_i32 s28, s29, -8
.LBB6_75:                               ;   in Loop: Header=BB6_35 Depth=3
	s_add_u32 s24, s2, 8
	s_addc_u32 s25, s3, 0
	s_cmp_gt_u32 s28, 7
	s_cbranch_scc1 .LBB6_79
; %bb.76:                               ;   in Loop: Header=BB6_35 Depth=3
	s_cmp_eq_u32 s28, 0
	s_cbranch_scc1 .LBB6_80
; %bb.77:                               ;   in Loop: Header=BB6_35 Depth=3
	v_mov_b32_e32 v29, 0
	s_mov_b64 s[24:25], 0
	v_mov_b32_e32 v30, 0
	s_mov_b64 s[26:27], 0
.LBB6_78:                               ;   Parent Loop BB6_3 Depth=1
                                        ;     Parent Loop BB6_6 Depth=2
                                        ;       Parent Loop BB6_35 Depth=3
                                        ; =>      This Inner Loop Header: Depth=4
	s_add_u32 s30, s2, s26
	s_addc_u32 s31, s3, s27
	global_load_ubyte v1, v2, s[30:31]
	s_add_u32 s26, s26, 1
	s_addc_u32 s27, s27, 0
	s_waitcnt vmcnt(0)
	v_and_b32_e32 v1, 0xffff, v1
	v_lshlrev_b64 v[3:4], s24, v[1:2]
	s_add_u32 s24, s24, 8
	s_addc_u32 s25, s25, 0
	v_or_b32_e32 v29, v3, v29
	s_cmp_lg_u32 s28, s26
	v_or_b32_e32 v30, v4, v30
	s_cbranch_scc1 .LBB6_78
	s_branch .LBB6_81
.LBB6_79:                               ;   in Loop: Header=BB6_35 Depth=3
                                        ; implicit-def: $vgpr29_vgpr30
	s_mov_b32 s29, 0
	s_branch .LBB6_82
.LBB6_80:                               ;   in Loop: Header=BB6_35 Depth=3
	v_mov_b32_e32 v29, 0
	v_mov_b32_e32 v30, 0
.LBB6_81:                               ;   in Loop: Header=BB6_35 Depth=3
	s_mov_b64 s[24:25], s[2:3]
	s_mov_b32 s29, 0
	s_cbranch_execnz .LBB6_83
.LBB6_82:                               ;   in Loop: Header=BB6_35 Depth=3
	global_load_dwordx2 v[29:30], v2, s[2:3]
	s_add_i32 s29, s28, -8
.LBB6_83:                               ;   in Loop: Header=BB6_35 Depth=3
	s_cmp_gt_u32 s29, 7
	s_cbranch_scc1 .LBB6_87
; %bb.84:                               ;   in Loop: Header=BB6_35 Depth=3
	s_cmp_eq_u32 s29, 0
	s_cbranch_scc1 .LBB6_88
; %bb.85:                               ;   in Loop: Header=BB6_35 Depth=3
	v_mov_b32_e32 v31, 0
	s_mov_b64 s[2:3], 0
	v_mov_b32_e32 v32, 0
	s_mov_b64 s[26:27], s[24:25]
.LBB6_86:                               ;   Parent Loop BB6_3 Depth=1
                                        ;     Parent Loop BB6_6 Depth=2
                                        ;       Parent Loop BB6_35 Depth=3
                                        ; =>      This Inner Loop Header: Depth=4
	global_load_ubyte v1, v2, s[26:27]
	s_add_i32 s29, s29, -1
	s_waitcnt vmcnt(0)
	v_and_b32_e32 v1, 0xffff, v1
	v_lshlrev_b64 v[3:4], s2, v[1:2]
	s_add_u32 s2, s2, 8
	s_addc_u32 s3, s3, 0
	s_add_u32 s26, s26, 1
	s_addc_u32 s27, s27, 0
	v_or_b32_e32 v31, v3, v31
	s_cmp_lg_u32 s29, 0
	v_or_b32_e32 v32, v4, v32
	s_cbranch_scc1 .LBB6_86
	s_branch .LBB6_89
.LBB6_87:                               ;   in Loop: Header=BB6_35 Depth=3
	s_branch .LBB6_90
.LBB6_88:                               ;   in Loop: Header=BB6_35 Depth=3
	v_mov_b32_e32 v31, 0
	v_mov_b32_e32 v32, 0
.LBB6_89:                               ;   in Loop: Header=BB6_35 Depth=3
	s_cbranch_execnz .LBB6_91
.LBB6_90:                               ;   in Loop: Header=BB6_35 Depth=3
	global_load_dwordx2 v[31:32], v2, s[24:25]
.LBB6_91:                               ;   in Loop: Header=BB6_35 Depth=3
	v_readfirstlane_b32 s2, v37
	v_mov_b32_e32 v3, 0
	v_mov_b32_e32 v4, 0
	v_cmp_eq_u32_e64 s[2:3], s2, v37
	s_and_saveexec_b64 s[24:25], s[2:3]
	s_cbranch_execz .LBB6_97
; %bb.92:                               ;   in Loop: Header=BB6_35 Depth=3
	global_load_dwordx2 v[35:36], v2, s[16:17] offset:24 glc
	s_waitcnt vmcnt(0)
	buffer_wbinvl1_vol
	global_load_dwordx2 v[3:4], v2, s[16:17] offset:40
	global_load_dwordx2 v[7:8], v2, s[16:17]
	s_waitcnt vmcnt(1)
	v_and_b32_e32 v1, v3, v35
	v_and_b32_e32 v3, v4, v36
	v_mul_lo_u32 v3, v3, 24
	v_mul_hi_u32 v4, v1, 24
	v_mul_lo_u32 v1, v1, 24
	v_add_u32_e32 v4, v4, v3
	s_waitcnt vmcnt(0)
	v_add_co_u32_e32 v3, vcc, v7, v1
	v_addc_co_u32_e32 v4, vcc, v8, v4, vcc
	global_load_dwordx2 v[33:34], v[3:4], off glc
	s_waitcnt vmcnt(0)
	global_atomic_cmpswap_x2 v[3:4], v2, v[33:36], s[16:17] offset:24 glc
	s_waitcnt vmcnt(0)
	buffer_wbinvl1_vol
	v_cmp_ne_u64_e32 vcc, v[3:4], v[35:36]
	s_and_saveexec_b64 s[26:27], vcc
	s_cbranch_execz .LBB6_96
; %bb.93:                               ;   in Loop: Header=BB6_35 Depth=3
	s_mov_b64 s[28:29], 0
.LBB6_94:                               ;   Parent Loop BB6_3 Depth=1
                                        ;     Parent Loop BB6_6 Depth=2
                                        ;       Parent Loop BB6_35 Depth=3
                                        ; =>      This Inner Loop Header: Depth=4
	s_sleep 1
	global_load_dwordx2 v[7:8], v2, s[16:17] offset:40
	global_load_dwordx2 v[11:12], v2, s[16:17]
	v_mov_b32_e32 v36, v4
	v_mov_b32_e32 v35, v3
	s_waitcnt vmcnt(1)
	v_and_b32_e32 v1, v7, v35
	s_waitcnt vmcnt(0)
	v_mad_u64_u32 v[3:4], s[30:31], v1, 24, v[11:12]
	v_and_b32_e32 v7, v8, v36
	v_mov_b32_e32 v1, v4
	v_mad_u64_u32 v[7:8], s[30:31], v7, 24, v[1:2]
	v_mov_b32_e32 v4, v7
	global_load_dwordx2 v[33:34], v[3:4], off glc
	s_waitcnt vmcnt(0)
	global_atomic_cmpswap_x2 v[3:4], v2, v[33:36], s[16:17] offset:24 glc
	s_waitcnt vmcnt(0)
	buffer_wbinvl1_vol
	v_cmp_eq_u64_e32 vcc, v[3:4], v[35:36]
	s_or_b64 s[28:29], vcc, s[28:29]
	s_andn2_b64 exec, exec, s[28:29]
	s_cbranch_execnz .LBB6_94
; %bb.95:                               ;   in Loop: Header=BB6_35 Depth=3
	s_or_b64 exec, exec, s[28:29]
.LBB6_96:                               ;   in Loop: Header=BB6_35 Depth=3
	s_or_b64 exec, exec, s[26:27]
.LBB6_97:                               ;   in Loop: Header=BB6_35 Depth=3
	s_or_b64 exec, exec, s[24:25]
	global_load_dwordx2 v[7:8], v2, s[16:17] offset:40
	global_load_dwordx4 v[33:36], v2, s[16:17]
	v_readfirstlane_b32 s25, v4
	v_readfirstlane_b32 s24, v3
	s_mov_b64 s[26:27], exec
	s_waitcnt vmcnt(1)
	v_readfirstlane_b32 s28, v7
	v_readfirstlane_b32 s29, v8
	s_and_b64 s[28:29], s[28:29], s[24:25]
	s_mul_i32 s30, s29, 24
	s_mul_hi_u32 s31, s28, 24
	s_mul_i32 s37, s28, 24
	s_add_i32 s30, s31, s30
	v_mov_b32_e32 v1, s30
	s_waitcnt vmcnt(0)
	v_add_co_u32_e32 v3, vcc, s37, v33
	v_addc_co_u32_e32 v4, vcc, v34, v1, vcc
	s_and_saveexec_b64 s[30:31], s[2:3]
	s_cbranch_execz .LBB6_99
; %bb.98:                               ;   in Loop: Header=BB6_35 Depth=3
	v_mov_b32_e32 v11, s26
	v_mov_b32_e32 v12, s27
	global_store_dwordx4 v[3:4], v[11:14], off offset:8
.LBB6_99:                               ;   in Loop: Header=BB6_35 Depth=3
	s_or_b64 exec, exec, s[30:31]
	s_lshl_b64 s[26:27], s[28:29], 12
	v_mov_b32_e32 v1, s27
	v_add_co_u32_e32 v35, vcc, s26, v35
	v_addc_co_u32_e32 v36, vcc, v36, v1, vcc
	v_cmp_lt_u64_e64 vcc, s[20:21], 57
	v_and_b32_e32 v1, 2, v19
	s_lshl_b32 s26, s22, 2
	v_cndmask_b32_e32 v1, 0, v1, vcc
	s_add_i32 s26, s26, 28
	v_and_b32_e32 v7, 0xffffff1f, v15
	s_and_b32 s26, s26, 0x1e0
	v_or_b32_e32 v1, v7, v1
	v_or_b32_e32 v15, s26, v1
	v_readfirstlane_b32 s26, v35
	v_readfirstlane_b32 s27, v36
	s_nop 4
	global_store_dwordx4 v38, v[15:18], s[26:27]
	global_store_dwordx4 v38, v[21:24], s[26:27] offset:16
	global_store_dwordx4 v38, v[25:28], s[26:27] offset:32
	;; [unrolled: 1-line block ×3, first 2 shown]
	s_and_saveexec_b64 s[26:27], s[2:3]
	s_cbranch_execz .LBB6_107
; %bb.100:                              ;   in Loop: Header=BB6_35 Depth=3
	global_load_dwordx2 v[23:24], v2, s[16:17] offset:32 glc
	global_load_dwordx2 v[7:8], v2, s[16:17] offset:40
	v_mov_b32_e32 v21, s24
	v_mov_b32_e32 v22, s25
	s_waitcnt vmcnt(0)
	v_readfirstlane_b32 s28, v7
	v_readfirstlane_b32 s29, v8
	s_and_b64 s[28:29], s[28:29], s[24:25]
	s_mul_i32 s29, s29, 24
	s_mul_hi_u32 s30, s28, 24
	s_mul_i32 s28, s28, 24
	s_add_i32 s29, s30, s29
	v_mov_b32_e32 v1, s29
	v_add_co_u32_e32 v7, vcc, s28, v33
	v_addc_co_u32_e32 v8, vcc, v34, v1, vcc
	global_store_dwordx2 v[7:8], v[23:24], off
	s_waitcnt vmcnt(0)
	global_atomic_cmpswap_x2 v[17:18], v2, v[21:24], s[16:17] offset:32 glc
	s_waitcnt vmcnt(0)
	v_cmp_ne_u64_e32 vcc, v[17:18], v[23:24]
	s_and_saveexec_b64 s[28:29], vcc
	s_cbranch_execz .LBB6_103
; %bb.101:                              ;   in Loop: Header=BB6_35 Depth=3
	s_mov_b64 s[30:31], 0
.LBB6_102:                              ;   Parent Loop BB6_3 Depth=1
                                        ;     Parent Loop BB6_6 Depth=2
                                        ;       Parent Loop BB6_35 Depth=3
                                        ; =>      This Inner Loop Header: Depth=4
	s_sleep 1
	global_store_dwordx2 v[7:8], v[17:18], off
	v_mov_b32_e32 v15, s24
	v_mov_b32_e32 v16, s25
	s_waitcnt vmcnt(0)
	global_atomic_cmpswap_x2 v[11:12], v2, v[15:18], s[16:17] offset:32 glc
	s_waitcnt vmcnt(0)
	v_cmp_eq_u64_e32 vcc, v[11:12], v[17:18]
	v_mov_b32_e32 v18, v12
	s_or_b64 s[30:31], vcc, s[30:31]
	v_mov_b32_e32 v17, v11
	s_andn2_b64 exec, exec, s[30:31]
	s_cbranch_execnz .LBB6_102
.LBB6_103:                              ;   in Loop: Header=BB6_35 Depth=3
	s_or_b64 exec, exec, s[28:29]
	global_load_dwordx2 v[7:8], v2, s[16:17] offset:16
	s_mov_b64 s[30:31], exec
	v_mbcnt_lo_u32_b32 v1, s30, 0
	v_mbcnt_hi_u32_b32 v1, s31, v1
	v_cmp_eq_u32_e32 vcc, 0, v1
	s_and_saveexec_b64 s[28:29], vcc
	s_cbranch_execz .LBB6_105
; %bb.104:                              ;   in Loop: Header=BB6_35 Depth=3
	s_bcnt1_i32_b64 s30, s[30:31]
	v_mov_b32_e32 v1, s30
	s_waitcnt vmcnt(0)
	global_atomic_add_x2 v[7:8], v[1:2], off offset:8
.LBB6_105:                              ;   in Loop: Header=BB6_35 Depth=3
	s_or_b64 exec, exec, s[28:29]
	s_waitcnt vmcnt(0)
	global_load_dwordx2 v[11:12], v[7:8], off offset:16
	s_waitcnt vmcnt(0)
	v_cmp_eq_u64_e32 vcc, 0, v[11:12]
	s_cbranch_vccnz .LBB6_107
; %bb.106:                              ;   in Loop: Header=BB6_35 Depth=3
	global_load_dword v1, v[7:8], off offset:24
	s_waitcnt vmcnt(0)
	v_readfirstlane_b32 s28, v1
	s_and_b32 m0, s28, 0xffffff
	global_store_dwordx2 v[11:12], v[1:2], off
	s_sendmsg sendmsg(MSG_INTERRUPT)
.LBB6_107:                              ;   in Loop: Header=BB6_35 Depth=3
	s_or_b64 exec, exec, s[26:27]
	v_add_co_u32_e32 v7, vcc, v35, v38
	v_addc_co_u32_e32 v8, vcc, 0, v36, vcc
	s_branch .LBB6_111
.LBB6_108:                              ;   in Loop: Header=BB6_111 Depth=4
	s_or_b64 exec, exec, s[26:27]
	v_readfirstlane_b32 s26, v1
	s_cmp_eq_u32 s26, 0
	s_cbranch_scc1 .LBB6_110
; %bb.109:                              ;   in Loop: Header=BB6_111 Depth=4
	s_sleep 1
	s_cbranch_execnz .LBB6_111
	s_branch .LBB6_113
.LBB6_110:                              ;   in Loop: Header=BB6_35 Depth=3
	s_branch .LBB6_113
.LBB6_111:                              ;   Parent Loop BB6_3 Depth=1
                                        ;     Parent Loop BB6_6 Depth=2
                                        ;       Parent Loop BB6_35 Depth=3
                                        ; =>      This Inner Loop Header: Depth=4
	v_mov_b32_e32 v1, 1
	s_and_saveexec_b64 s[26:27], s[2:3]
	s_cbranch_execz .LBB6_108
; %bb.112:                              ;   in Loop: Header=BB6_111 Depth=4
	global_load_dword v1, v[3:4], off offset:20 glc
	s_waitcnt vmcnt(0)
	buffer_wbinvl1_vol
	v_and_b32_e32 v1, 1, v1
	s_branch .LBB6_108
.LBB6_113:                              ;   in Loop: Header=BB6_35 Depth=3
	global_load_dwordx2 v[15:16], v[7:8], off
	s_and_saveexec_b64 s[26:27], s[2:3]
	s_cbranch_execz .LBB6_34
; %bb.114:                              ;   in Loop: Header=BB6_35 Depth=3
	global_load_dwordx2 v[3:4], v2, s[16:17] offset:40
	global_load_dwordx2 v[25:26], v2, s[16:17] offset:24 glc
	global_load_dwordx2 v[7:8], v2, s[16:17]
	s_waitcnt vmcnt(2)
	v_readfirstlane_b32 s28, v3
	v_readfirstlane_b32 s29, v4
	s_add_u32 s30, s28, 1
	s_addc_u32 s31, s29, 0
	s_add_u32 s2, s30, s24
	s_addc_u32 s3, s31, s25
	s_cmp_eq_u64 s[2:3], 0
	s_cselect_b32 s3, s31, s3
	s_cselect_b32 s2, s30, s2
	s_and_b64 s[24:25], s[2:3], s[28:29]
	s_mul_i32 s25, s25, 24
	s_mul_hi_u32 s28, s24, 24
	s_mul_i32 s24, s24, 24
	s_add_i32 s25, s28, s25
	v_mov_b32_e32 v1, s25
	s_waitcnt vmcnt(0)
	v_add_co_u32_e32 v3, vcc, s24, v7
	v_addc_co_u32_e32 v4, vcc, v8, v1, vcc
	v_mov_b32_e32 v23, s2
	global_store_dwordx2 v[3:4], v[25:26], off
	v_mov_b32_e32 v24, s3
	s_waitcnt vmcnt(0)
	global_atomic_cmpswap_x2 v[23:24], v2, v[23:26], s[16:17] offset:24 glc
	s_waitcnt vmcnt(0)
	v_cmp_ne_u64_e32 vcc, v[23:24], v[25:26]
	s_and_b64 exec, exec, vcc
	s_cbranch_execz .LBB6_34
; %bb.115:                              ;   in Loop: Header=BB6_35 Depth=3
	s_mov_b64 s[24:25], 0
.LBB6_116:                              ;   Parent Loop BB6_3 Depth=1
                                        ;     Parent Loop BB6_6 Depth=2
                                        ;       Parent Loop BB6_35 Depth=3
                                        ; =>      This Inner Loop Header: Depth=4
	s_sleep 1
	global_store_dwordx2 v[3:4], v[23:24], off
	v_mov_b32_e32 v21, s2
	v_mov_b32_e32 v22, s3
	s_waitcnt vmcnt(0)
	global_atomic_cmpswap_x2 v[7:8], v2, v[21:24], s[16:17] offset:24 glc
	s_waitcnt vmcnt(0)
	v_cmp_eq_u64_e32 vcc, v[7:8], v[23:24]
	v_mov_b32_e32 v24, v8
	s_or_b64 s[24:25], vcc, s[24:25]
	v_mov_b32_e32 v23, v7
	s_andn2_b64 exec, exec, s[24:25]
	s_cbranch_execnz .LBB6_116
	s_branch .LBB6_34
.LBB6_117:                              ;   in Loop: Header=BB6_6 Depth=2
.LBB6_118:                              ;   in Loop: Header=BB6_6 Depth=2
	s_and_b64 vcc, exec, s[14:15]
	s_cbranch_vccz .LBB6_232
.LBB6_119:                              ;   in Loop: Header=BB6_6 Depth=2
	s_waitcnt vmcnt(0)
	v_and_b32_e32 v17, -3, v15
	v_mov_b32_e32 v18, v16
	s_mov_b64 s[20:21], 53
	s_getpc_b64 s[18:19]
	s_add_u32 s18, s18, .str.8@rel32@lo+4
	s_addc_u32 s19, s19, .str.8@rel32@hi+12
	s_branch .LBB6_121
.LBB6_120:                              ;   in Loop: Header=BB6_121 Depth=3
	s_or_b64 exec, exec, s[26:27]
	s_sub_u32 s20, s20, s22
	s_subb_u32 s21, s21, s23
	s_add_u32 s18, s18, s22
	s_addc_u32 s19, s19, s23
	s_cmp_lg_u64 s[20:21], 0
	s_cbranch_scc0 .LBB6_203
.LBB6_121:                              ;   Parent Loop BB6_3 Depth=1
                                        ;     Parent Loop BB6_6 Depth=2
                                        ; =>    This Loop Header: Depth=3
                                        ;         Child Loop BB6_124 Depth 4
                                        ;         Child Loop BB6_132 Depth 4
	;; [unrolled: 1-line block ×11, first 2 shown]
	v_cmp_lt_u64_e64 s[2:3], s[20:21], 56
	v_cmp_gt_u64_e64 s[24:25], s[20:21], 7
	s_and_b64 s[2:3], s[2:3], exec
	s_cselect_b32 s23, s21, 0
	s_cselect_b32 s22, s20, 56
	s_add_u32 s2, s18, 8
	s_addc_u32 s3, s19, 0
	s_and_b64 vcc, exec, s[24:25]
	s_cbranch_vccnz .LBB6_125
; %bb.122:                              ;   in Loop: Header=BB6_121 Depth=3
	s_cmp_eq_u64 s[20:21], 0
	s_cbranch_scc1 .LBB6_126
; %bb.123:                              ;   in Loop: Header=BB6_121 Depth=3
	v_mov_b32_e32 v19, 0
	s_lshl_b64 s[2:3], s[22:23], 3
	s_mov_b64 s[24:25], 0
	v_mov_b32_e32 v20, 0
	s_mov_b64 s[26:27], s[18:19]
.LBB6_124:                              ;   Parent Loop BB6_3 Depth=1
                                        ;     Parent Loop BB6_6 Depth=2
                                        ;       Parent Loop BB6_121 Depth=3
                                        ; =>      This Inner Loop Header: Depth=4
	global_load_ubyte v1, v2, s[26:27]
	s_waitcnt vmcnt(0)
	v_and_b32_e32 v1, 0xffff, v1
	v_lshlrev_b64 v[3:4], s24, v[1:2]
	s_add_u32 s24, s24, 8
	s_addc_u32 s25, s25, 0
	s_add_u32 s26, s26, 1
	s_addc_u32 s27, s27, 0
	v_or_b32_e32 v19, v3, v19
	s_cmp_lg_u32 s2, s24
	v_or_b32_e32 v20, v4, v20
	s_cbranch_scc1 .LBB6_124
	s_branch .LBB6_127
.LBB6_125:                              ;   in Loop: Header=BB6_121 Depth=3
	s_mov_b32 s28, 0
	s_branch .LBB6_128
.LBB6_126:                              ;   in Loop: Header=BB6_121 Depth=3
	v_mov_b32_e32 v19, 0
	v_mov_b32_e32 v20, 0
.LBB6_127:                              ;   in Loop: Header=BB6_121 Depth=3
	s_mov_b64 s[2:3], s[18:19]
	s_mov_b32 s28, 0
	s_cbranch_execnz .LBB6_129
.LBB6_128:                              ;   in Loop: Header=BB6_121 Depth=3
	global_load_dwordx2 v[19:20], v2, s[18:19]
	s_add_i32 s28, s22, -8
.LBB6_129:                              ;   in Loop: Header=BB6_121 Depth=3
	s_add_u32 s24, s2, 8
	s_addc_u32 s25, s3, 0
	s_cmp_gt_u32 s28, 7
	s_cbranch_scc1 .LBB6_133
; %bb.130:                              ;   in Loop: Header=BB6_121 Depth=3
	s_cmp_eq_u32 s28, 0
	s_cbranch_scc1 .LBB6_134
; %bb.131:                              ;   in Loop: Header=BB6_121 Depth=3
	v_mov_b32_e32 v21, 0
	s_mov_b64 s[24:25], 0
	v_mov_b32_e32 v22, 0
	s_mov_b64 s[26:27], 0
.LBB6_132:                              ;   Parent Loop BB6_3 Depth=1
                                        ;     Parent Loop BB6_6 Depth=2
                                        ;       Parent Loop BB6_121 Depth=3
                                        ; =>      This Inner Loop Header: Depth=4
	s_add_u32 s30, s2, s26
	s_addc_u32 s31, s3, s27
	global_load_ubyte v1, v2, s[30:31]
	s_add_u32 s26, s26, 1
	s_addc_u32 s27, s27, 0
	s_waitcnt vmcnt(0)
	v_and_b32_e32 v1, 0xffff, v1
	v_lshlrev_b64 v[3:4], s24, v[1:2]
	s_add_u32 s24, s24, 8
	s_addc_u32 s25, s25, 0
	v_or_b32_e32 v21, v3, v21
	s_cmp_lg_u32 s28, s26
	v_or_b32_e32 v22, v4, v22
	s_cbranch_scc1 .LBB6_132
	s_branch .LBB6_135
.LBB6_133:                              ;   in Loop: Header=BB6_121 Depth=3
                                        ; implicit-def: $vgpr21_vgpr22
	s_mov_b32 s29, 0
	s_branch .LBB6_136
.LBB6_134:                              ;   in Loop: Header=BB6_121 Depth=3
	v_mov_b32_e32 v21, 0
	v_mov_b32_e32 v22, 0
.LBB6_135:                              ;   in Loop: Header=BB6_121 Depth=3
	s_mov_b64 s[24:25], s[2:3]
	s_mov_b32 s29, 0
	s_cbranch_execnz .LBB6_137
.LBB6_136:                              ;   in Loop: Header=BB6_121 Depth=3
	global_load_dwordx2 v[21:22], v2, s[2:3]
	s_add_i32 s29, s28, -8
.LBB6_137:                              ;   in Loop: Header=BB6_121 Depth=3
	s_add_u32 s2, s24, 8
	s_addc_u32 s3, s25, 0
	s_cmp_gt_u32 s29, 7
	s_cbranch_scc1 .LBB6_141
; %bb.138:                              ;   in Loop: Header=BB6_121 Depth=3
	s_cmp_eq_u32 s29, 0
	s_cbranch_scc1 .LBB6_142
; %bb.139:                              ;   in Loop: Header=BB6_121 Depth=3
	v_mov_b32_e32 v23, 0
	s_mov_b64 s[2:3], 0
	v_mov_b32_e32 v24, 0
	s_mov_b64 s[26:27], 0
.LBB6_140:                              ;   Parent Loop BB6_3 Depth=1
                                        ;     Parent Loop BB6_6 Depth=2
                                        ;       Parent Loop BB6_121 Depth=3
                                        ; =>      This Inner Loop Header: Depth=4
	s_add_u32 s30, s24, s26
	s_addc_u32 s31, s25, s27
	global_load_ubyte v1, v2, s[30:31]
	s_add_u32 s26, s26, 1
	s_addc_u32 s27, s27, 0
	s_waitcnt vmcnt(0)
	v_and_b32_e32 v1, 0xffff, v1
	v_lshlrev_b64 v[3:4], s2, v[1:2]
	s_add_u32 s2, s2, 8
	s_addc_u32 s3, s3, 0
	v_or_b32_e32 v23, v3, v23
	s_cmp_lg_u32 s29, s26
	v_or_b32_e32 v24, v4, v24
	s_cbranch_scc1 .LBB6_140
	s_branch .LBB6_143
.LBB6_141:                              ;   in Loop: Header=BB6_121 Depth=3
	s_mov_b32 s28, 0
	s_branch .LBB6_144
.LBB6_142:                              ;   in Loop: Header=BB6_121 Depth=3
	v_mov_b32_e32 v23, 0
	v_mov_b32_e32 v24, 0
.LBB6_143:                              ;   in Loop: Header=BB6_121 Depth=3
	s_mov_b64 s[2:3], s[24:25]
	s_mov_b32 s28, 0
	s_cbranch_execnz .LBB6_145
.LBB6_144:                              ;   in Loop: Header=BB6_121 Depth=3
	global_load_dwordx2 v[23:24], v2, s[24:25]
	s_add_i32 s28, s29, -8
.LBB6_145:                              ;   in Loop: Header=BB6_121 Depth=3
	s_add_u32 s24, s2, 8
	s_addc_u32 s25, s3, 0
	s_cmp_gt_u32 s28, 7
	s_cbranch_scc1 .LBB6_149
; %bb.146:                              ;   in Loop: Header=BB6_121 Depth=3
	s_cmp_eq_u32 s28, 0
	s_cbranch_scc1 .LBB6_150
; %bb.147:                              ;   in Loop: Header=BB6_121 Depth=3
	v_mov_b32_e32 v25, 0
	s_mov_b64 s[24:25], 0
	v_mov_b32_e32 v26, 0
	s_mov_b64 s[26:27], 0
.LBB6_148:                              ;   Parent Loop BB6_3 Depth=1
                                        ;     Parent Loop BB6_6 Depth=2
                                        ;       Parent Loop BB6_121 Depth=3
                                        ; =>      This Inner Loop Header: Depth=4
	s_add_u32 s30, s2, s26
	s_addc_u32 s31, s3, s27
	global_load_ubyte v1, v2, s[30:31]
	s_add_u32 s26, s26, 1
	s_addc_u32 s27, s27, 0
	s_waitcnt vmcnt(0)
	v_and_b32_e32 v1, 0xffff, v1
	v_lshlrev_b64 v[3:4], s24, v[1:2]
	s_add_u32 s24, s24, 8
	s_addc_u32 s25, s25, 0
	v_or_b32_e32 v25, v3, v25
	s_cmp_lg_u32 s28, s26
	v_or_b32_e32 v26, v4, v26
	s_cbranch_scc1 .LBB6_148
	s_branch .LBB6_151
.LBB6_149:                              ;   in Loop: Header=BB6_121 Depth=3
                                        ; implicit-def: $vgpr25_vgpr26
	s_mov_b32 s29, 0
	s_branch .LBB6_152
.LBB6_150:                              ;   in Loop: Header=BB6_121 Depth=3
	v_mov_b32_e32 v25, 0
	v_mov_b32_e32 v26, 0
.LBB6_151:                              ;   in Loop: Header=BB6_121 Depth=3
	s_mov_b64 s[24:25], s[2:3]
	s_mov_b32 s29, 0
	s_cbranch_execnz .LBB6_153
.LBB6_152:                              ;   in Loop: Header=BB6_121 Depth=3
	global_load_dwordx2 v[25:26], v2, s[2:3]
	s_add_i32 s29, s28, -8
.LBB6_153:                              ;   in Loop: Header=BB6_121 Depth=3
	s_add_u32 s2, s24, 8
	s_addc_u32 s3, s25, 0
	s_cmp_gt_u32 s29, 7
	s_cbranch_scc1 .LBB6_157
; %bb.154:                              ;   in Loop: Header=BB6_121 Depth=3
	s_cmp_eq_u32 s29, 0
	s_cbranch_scc1 .LBB6_158
; %bb.155:                              ;   in Loop: Header=BB6_121 Depth=3
	v_mov_b32_e32 v27, 0
	s_mov_b64 s[2:3], 0
	v_mov_b32_e32 v28, 0
	s_mov_b64 s[26:27], 0
.LBB6_156:                              ;   Parent Loop BB6_3 Depth=1
                                        ;     Parent Loop BB6_6 Depth=2
                                        ;       Parent Loop BB6_121 Depth=3
                                        ; =>      This Inner Loop Header: Depth=4
	s_add_u32 s30, s24, s26
	s_addc_u32 s31, s25, s27
	global_load_ubyte v1, v2, s[30:31]
	s_add_u32 s26, s26, 1
	s_addc_u32 s27, s27, 0
	s_waitcnt vmcnt(0)
	v_and_b32_e32 v1, 0xffff, v1
	v_lshlrev_b64 v[3:4], s2, v[1:2]
	s_add_u32 s2, s2, 8
	s_addc_u32 s3, s3, 0
	v_or_b32_e32 v27, v3, v27
	s_cmp_lg_u32 s29, s26
	v_or_b32_e32 v28, v4, v28
	s_cbranch_scc1 .LBB6_156
	s_branch .LBB6_159
.LBB6_157:                              ;   in Loop: Header=BB6_121 Depth=3
	s_mov_b32 s28, 0
	s_branch .LBB6_160
.LBB6_158:                              ;   in Loop: Header=BB6_121 Depth=3
	v_mov_b32_e32 v27, 0
	v_mov_b32_e32 v28, 0
.LBB6_159:                              ;   in Loop: Header=BB6_121 Depth=3
	s_mov_b64 s[2:3], s[24:25]
	s_mov_b32 s28, 0
	s_cbranch_execnz .LBB6_161
.LBB6_160:                              ;   in Loop: Header=BB6_121 Depth=3
	global_load_dwordx2 v[27:28], v2, s[24:25]
	s_add_i32 s28, s29, -8
.LBB6_161:                              ;   in Loop: Header=BB6_121 Depth=3
	s_add_u32 s24, s2, 8
	s_addc_u32 s25, s3, 0
	s_cmp_gt_u32 s28, 7
	s_cbranch_scc1 .LBB6_165
; %bb.162:                              ;   in Loop: Header=BB6_121 Depth=3
	s_cmp_eq_u32 s28, 0
	s_cbranch_scc1 .LBB6_166
; %bb.163:                              ;   in Loop: Header=BB6_121 Depth=3
	v_mov_b32_e32 v29, 0
	s_mov_b64 s[24:25], 0
	v_mov_b32_e32 v30, 0
	s_mov_b64 s[26:27], 0
.LBB6_164:                              ;   Parent Loop BB6_3 Depth=1
                                        ;     Parent Loop BB6_6 Depth=2
                                        ;       Parent Loop BB6_121 Depth=3
                                        ; =>      This Inner Loop Header: Depth=4
	s_add_u32 s30, s2, s26
	s_addc_u32 s31, s3, s27
	global_load_ubyte v1, v2, s[30:31]
	s_add_u32 s26, s26, 1
	s_addc_u32 s27, s27, 0
	s_waitcnt vmcnt(0)
	v_and_b32_e32 v1, 0xffff, v1
	v_lshlrev_b64 v[3:4], s24, v[1:2]
	s_add_u32 s24, s24, 8
	s_addc_u32 s25, s25, 0
	v_or_b32_e32 v29, v3, v29
	s_cmp_lg_u32 s28, s26
	v_or_b32_e32 v30, v4, v30
	s_cbranch_scc1 .LBB6_164
	s_branch .LBB6_167
.LBB6_165:                              ;   in Loop: Header=BB6_121 Depth=3
                                        ; implicit-def: $vgpr29_vgpr30
	s_mov_b32 s29, 0
	s_branch .LBB6_168
.LBB6_166:                              ;   in Loop: Header=BB6_121 Depth=3
	v_mov_b32_e32 v29, 0
	v_mov_b32_e32 v30, 0
.LBB6_167:                              ;   in Loop: Header=BB6_121 Depth=3
	s_mov_b64 s[24:25], s[2:3]
	s_mov_b32 s29, 0
	s_cbranch_execnz .LBB6_169
.LBB6_168:                              ;   in Loop: Header=BB6_121 Depth=3
	global_load_dwordx2 v[29:30], v2, s[2:3]
	s_add_i32 s29, s28, -8
.LBB6_169:                              ;   in Loop: Header=BB6_121 Depth=3
	s_cmp_gt_u32 s29, 7
	s_cbranch_scc1 .LBB6_173
; %bb.170:                              ;   in Loop: Header=BB6_121 Depth=3
	s_cmp_eq_u32 s29, 0
	s_cbranch_scc1 .LBB6_174
; %bb.171:                              ;   in Loop: Header=BB6_121 Depth=3
	v_mov_b32_e32 v31, 0
	s_mov_b64 s[2:3], 0
	v_mov_b32_e32 v32, 0
	s_mov_b64 s[26:27], s[24:25]
.LBB6_172:                              ;   Parent Loop BB6_3 Depth=1
                                        ;     Parent Loop BB6_6 Depth=2
                                        ;       Parent Loop BB6_121 Depth=3
                                        ; =>      This Inner Loop Header: Depth=4
	global_load_ubyte v1, v2, s[26:27]
	s_add_i32 s29, s29, -1
	s_waitcnt vmcnt(0)
	v_and_b32_e32 v1, 0xffff, v1
	v_lshlrev_b64 v[3:4], s2, v[1:2]
	s_add_u32 s2, s2, 8
	s_addc_u32 s3, s3, 0
	s_add_u32 s26, s26, 1
	s_addc_u32 s27, s27, 0
	v_or_b32_e32 v31, v3, v31
	s_cmp_lg_u32 s29, 0
	v_or_b32_e32 v32, v4, v32
	s_cbranch_scc1 .LBB6_172
	s_branch .LBB6_175
.LBB6_173:                              ;   in Loop: Header=BB6_121 Depth=3
	s_branch .LBB6_176
.LBB6_174:                              ;   in Loop: Header=BB6_121 Depth=3
	v_mov_b32_e32 v31, 0
	v_mov_b32_e32 v32, 0
.LBB6_175:                              ;   in Loop: Header=BB6_121 Depth=3
	s_cbranch_execnz .LBB6_177
.LBB6_176:                              ;   in Loop: Header=BB6_121 Depth=3
	global_load_dwordx2 v[31:32], v2, s[24:25]
.LBB6_177:                              ;   in Loop: Header=BB6_121 Depth=3
	v_readfirstlane_b32 s2, v37
	v_mov_b32_e32 v3, 0
	v_mov_b32_e32 v4, 0
	v_cmp_eq_u32_e64 s[2:3], s2, v37
	s_and_saveexec_b64 s[24:25], s[2:3]
	s_cbranch_execz .LBB6_183
; %bb.178:                              ;   in Loop: Header=BB6_121 Depth=3
	global_load_dwordx2 v[35:36], v2, s[16:17] offset:24 glc
	s_waitcnt vmcnt(0)
	buffer_wbinvl1_vol
	global_load_dwordx2 v[3:4], v2, s[16:17] offset:40
	global_load_dwordx2 v[7:8], v2, s[16:17]
	s_waitcnt vmcnt(1)
	v_and_b32_e32 v1, v3, v35
	v_and_b32_e32 v3, v4, v36
	v_mul_lo_u32 v3, v3, 24
	v_mul_hi_u32 v4, v1, 24
	v_mul_lo_u32 v1, v1, 24
	v_add_u32_e32 v4, v4, v3
	s_waitcnt vmcnt(0)
	v_add_co_u32_e32 v3, vcc, v7, v1
	v_addc_co_u32_e32 v4, vcc, v8, v4, vcc
	global_load_dwordx2 v[33:34], v[3:4], off glc
	s_waitcnt vmcnt(0)
	global_atomic_cmpswap_x2 v[3:4], v2, v[33:36], s[16:17] offset:24 glc
	s_waitcnt vmcnt(0)
	buffer_wbinvl1_vol
	v_cmp_ne_u64_e32 vcc, v[3:4], v[35:36]
	s_and_saveexec_b64 s[26:27], vcc
	s_cbranch_execz .LBB6_182
; %bb.179:                              ;   in Loop: Header=BB6_121 Depth=3
	s_mov_b64 s[28:29], 0
.LBB6_180:                              ;   Parent Loop BB6_3 Depth=1
                                        ;     Parent Loop BB6_6 Depth=2
                                        ;       Parent Loop BB6_121 Depth=3
                                        ; =>      This Inner Loop Header: Depth=4
	s_sleep 1
	global_load_dwordx2 v[7:8], v2, s[16:17] offset:40
	global_load_dwordx2 v[11:12], v2, s[16:17]
	v_mov_b32_e32 v36, v4
	v_mov_b32_e32 v35, v3
	s_waitcnt vmcnt(1)
	v_and_b32_e32 v1, v7, v35
	s_waitcnt vmcnt(0)
	v_mad_u64_u32 v[3:4], s[30:31], v1, 24, v[11:12]
	v_and_b32_e32 v7, v8, v36
	v_mov_b32_e32 v1, v4
	v_mad_u64_u32 v[7:8], s[30:31], v7, 24, v[1:2]
	v_mov_b32_e32 v4, v7
	global_load_dwordx2 v[33:34], v[3:4], off glc
	s_waitcnt vmcnt(0)
	global_atomic_cmpswap_x2 v[3:4], v2, v[33:36], s[16:17] offset:24 glc
	s_waitcnt vmcnt(0)
	buffer_wbinvl1_vol
	v_cmp_eq_u64_e32 vcc, v[3:4], v[35:36]
	s_or_b64 s[28:29], vcc, s[28:29]
	s_andn2_b64 exec, exec, s[28:29]
	s_cbranch_execnz .LBB6_180
; %bb.181:                              ;   in Loop: Header=BB6_121 Depth=3
	s_or_b64 exec, exec, s[28:29]
.LBB6_182:                              ;   in Loop: Header=BB6_121 Depth=3
	s_or_b64 exec, exec, s[26:27]
.LBB6_183:                              ;   in Loop: Header=BB6_121 Depth=3
	s_or_b64 exec, exec, s[24:25]
	global_load_dwordx2 v[7:8], v2, s[16:17] offset:40
	global_load_dwordx4 v[33:36], v2, s[16:17]
	v_readfirstlane_b32 s25, v4
	v_readfirstlane_b32 s24, v3
	s_mov_b64 s[26:27], exec
	s_waitcnt vmcnt(1)
	v_readfirstlane_b32 s28, v7
	v_readfirstlane_b32 s29, v8
	s_and_b64 s[28:29], s[28:29], s[24:25]
	s_mul_i32 s30, s29, 24
	s_mul_hi_u32 s31, s28, 24
	s_mul_i32 s37, s28, 24
	s_add_i32 s30, s31, s30
	v_mov_b32_e32 v1, s30
	s_waitcnt vmcnt(0)
	v_add_co_u32_e32 v3, vcc, s37, v33
	v_addc_co_u32_e32 v4, vcc, v34, v1, vcc
	s_and_saveexec_b64 s[30:31], s[2:3]
	s_cbranch_execz .LBB6_185
; %bb.184:                              ;   in Loop: Header=BB6_121 Depth=3
	v_mov_b32_e32 v11, s26
	v_mov_b32_e32 v12, s27
	global_store_dwordx4 v[3:4], v[11:14], off offset:8
.LBB6_185:                              ;   in Loop: Header=BB6_121 Depth=3
	s_or_b64 exec, exec, s[30:31]
	s_lshl_b64 s[26:27], s[28:29], 12
	v_mov_b32_e32 v1, s27
	v_add_co_u32_e32 v35, vcc, s26, v35
	v_addc_co_u32_e32 v36, vcc, v36, v1, vcc
	v_cmp_lt_u64_e64 vcc, s[20:21], 57
	v_and_b32_e32 v1, 2, v15
	s_lshl_b32 s26, s22, 2
	v_cndmask_b32_e32 v1, 0, v1, vcc
	s_add_i32 s26, s26, 28
	v_and_b32_e32 v7, 0xffffff1f, v17
	s_and_b32 s26, s26, 0x1e0
	v_or_b32_e32 v1, v7, v1
	v_or_b32_e32 v17, s26, v1
	v_readfirstlane_b32 s26, v35
	v_readfirstlane_b32 s27, v36
	s_nop 4
	global_store_dwordx4 v38, v[17:20], s[26:27]
	global_store_dwordx4 v38, v[21:24], s[26:27] offset:16
	global_store_dwordx4 v38, v[25:28], s[26:27] offset:32
	global_store_dwordx4 v38, v[29:32], s[26:27] offset:48
	s_and_saveexec_b64 s[26:27], s[2:3]
	s_cbranch_execz .LBB6_193
; %bb.186:                              ;   in Loop: Header=BB6_121 Depth=3
	global_load_dwordx2 v[21:22], v2, s[16:17] offset:32 glc
	global_load_dwordx2 v[7:8], v2, s[16:17] offset:40
	v_mov_b32_e32 v19, s24
	v_mov_b32_e32 v20, s25
	s_waitcnt vmcnt(0)
	v_readfirstlane_b32 s28, v7
	v_readfirstlane_b32 s29, v8
	s_and_b64 s[28:29], s[28:29], s[24:25]
	s_mul_i32 s29, s29, 24
	s_mul_hi_u32 s30, s28, 24
	s_mul_i32 s28, s28, 24
	s_add_i32 s29, s30, s29
	v_mov_b32_e32 v1, s29
	v_add_co_u32_e32 v7, vcc, s28, v33
	v_addc_co_u32_e32 v8, vcc, v34, v1, vcc
	global_store_dwordx2 v[7:8], v[21:22], off
	s_waitcnt vmcnt(0)
	global_atomic_cmpswap_x2 v[19:20], v2, v[19:22], s[16:17] offset:32 glc
	s_waitcnt vmcnt(0)
	v_cmp_ne_u64_e32 vcc, v[19:20], v[21:22]
	s_and_saveexec_b64 s[28:29], vcc
	s_cbranch_execz .LBB6_189
; %bb.187:                              ;   in Loop: Header=BB6_121 Depth=3
	s_mov_b64 s[30:31], 0
.LBB6_188:                              ;   Parent Loop BB6_3 Depth=1
                                        ;     Parent Loop BB6_6 Depth=2
                                        ;       Parent Loop BB6_121 Depth=3
                                        ; =>      This Inner Loop Header: Depth=4
	s_sleep 1
	global_store_dwordx2 v[7:8], v[19:20], off
	v_mov_b32_e32 v17, s24
	v_mov_b32_e32 v18, s25
	s_waitcnt vmcnt(0)
	global_atomic_cmpswap_x2 v[11:12], v2, v[17:20], s[16:17] offset:32 glc
	s_waitcnt vmcnt(0)
	v_cmp_eq_u64_e32 vcc, v[11:12], v[19:20]
	v_mov_b32_e32 v20, v12
	s_or_b64 s[30:31], vcc, s[30:31]
	v_mov_b32_e32 v19, v11
	s_andn2_b64 exec, exec, s[30:31]
	s_cbranch_execnz .LBB6_188
.LBB6_189:                              ;   in Loop: Header=BB6_121 Depth=3
	s_or_b64 exec, exec, s[28:29]
	global_load_dwordx2 v[7:8], v2, s[16:17] offset:16
	s_mov_b64 s[30:31], exec
	v_mbcnt_lo_u32_b32 v1, s30, 0
	v_mbcnt_hi_u32_b32 v1, s31, v1
	v_cmp_eq_u32_e32 vcc, 0, v1
	s_and_saveexec_b64 s[28:29], vcc
	s_cbranch_execz .LBB6_191
; %bb.190:                              ;   in Loop: Header=BB6_121 Depth=3
	s_bcnt1_i32_b64 s30, s[30:31]
	v_mov_b32_e32 v1, s30
	s_waitcnt vmcnt(0)
	global_atomic_add_x2 v[7:8], v[1:2], off offset:8
.LBB6_191:                              ;   in Loop: Header=BB6_121 Depth=3
	s_or_b64 exec, exec, s[28:29]
	s_waitcnt vmcnt(0)
	global_load_dwordx2 v[11:12], v[7:8], off offset:16
	s_waitcnt vmcnt(0)
	v_cmp_eq_u64_e32 vcc, 0, v[11:12]
	s_cbranch_vccnz .LBB6_193
; %bb.192:                              ;   in Loop: Header=BB6_121 Depth=3
	global_load_dword v1, v[7:8], off offset:24
	s_waitcnt vmcnt(0)
	v_readfirstlane_b32 s28, v1
	s_and_b32 m0, s28, 0xffffff
	global_store_dwordx2 v[11:12], v[1:2], off
	s_sendmsg sendmsg(MSG_INTERRUPT)
.LBB6_193:                              ;   in Loop: Header=BB6_121 Depth=3
	s_or_b64 exec, exec, s[26:27]
	v_add_co_u32_e32 v7, vcc, v35, v38
	v_addc_co_u32_e32 v8, vcc, 0, v36, vcc
	s_branch .LBB6_197
.LBB6_194:                              ;   in Loop: Header=BB6_197 Depth=4
	s_or_b64 exec, exec, s[26:27]
	v_readfirstlane_b32 s26, v1
	s_cmp_eq_u32 s26, 0
	s_cbranch_scc1 .LBB6_196
; %bb.195:                              ;   in Loop: Header=BB6_197 Depth=4
	s_sleep 1
	s_cbranch_execnz .LBB6_197
	s_branch .LBB6_199
.LBB6_196:                              ;   in Loop: Header=BB6_121 Depth=3
	s_branch .LBB6_199
.LBB6_197:                              ;   Parent Loop BB6_3 Depth=1
                                        ;     Parent Loop BB6_6 Depth=2
                                        ;       Parent Loop BB6_121 Depth=3
                                        ; =>      This Inner Loop Header: Depth=4
	v_mov_b32_e32 v1, 1
	s_and_saveexec_b64 s[26:27], s[2:3]
	s_cbranch_execz .LBB6_194
; %bb.198:                              ;   in Loop: Header=BB6_197 Depth=4
	global_load_dword v1, v[3:4], off offset:20 glc
	s_waitcnt vmcnt(0)
	buffer_wbinvl1_vol
	v_and_b32_e32 v1, 1, v1
	s_branch .LBB6_194
.LBB6_199:                              ;   in Loop: Header=BB6_121 Depth=3
	global_load_dwordx2 v[17:18], v[7:8], off
	s_and_saveexec_b64 s[26:27], s[2:3]
	s_cbranch_execz .LBB6_120
; %bb.200:                              ;   in Loop: Header=BB6_121 Depth=3
	global_load_dwordx2 v[3:4], v2, s[16:17] offset:40
	global_load_dwordx2 v[23:24], v2, s[16:17] offset:24 glc
	global_load_dwordx2 v[7:8], v2, s[16:17]
	s_waitcnt vmcnt(2)
	v_readfirstlane_b32 s28, v3
	v_readfirstlane_b32 s29, v4
	s_add_u32 s30, s28, 1
	s_addc_u32 s31, s29, 0
	s_add_u32 s2, s30, s24
	s_addc_u32 s3, s31, s25
	s_cmp_eq_u64 s[2:3], 0
	s_cselect_b32 s3, s31, s3
	s_cselect_b32 s2, s30, s2
	s_and_b64 s[24:25], s[2:3], s[28:29]
	s_mul_i32 s25, s25, 24
	s_mul_hi_u32 s28, s24, 24
	s_mul_i32 s24, s24, 24
	s_add_i32 s25, s28, s25
	v_mov_b32_e32 v1, s25
	s_waitcnt vmcnt(0)
	v_add_co_u32_e32 v3, vcc, s24, v7
	v_addc_co_u32_e32 v4, vcc, v8, v1, vcc
	v_mov_b32_e32 v21, s2
	global_store_dwordx2 v[3:4], v[23:24], off
	v_mov_b32_e32 v22, s3
	s_waitcnt vmcnt(0)
	global_atomic_cmpswap_x2 v[21:22], v2, v[21:24], s[16:17] offset:24 glc
	s_waitcnt vmcnt(0)
	v_cmp_ne_u64_e32 vcc, v[21:22], v[23:24]
	s_and_b64 exec, exec, vcc
	s_cbranch_execz .LBB6_120
; %bb.201:                              ;   in Loop: Header=BB6_121 Depth=3
	s_mov_b64 s[24:25], 0
.LBB6_202:                              ;   Parent Loop BB6_3 Depth=1
                                        ;     Parent Loop BB6_6 Depth=2
                                        ;       Parent Loop BB6_121 Depth=3
                                        ; =>      This Inner Loop Header: Depth=4
	s_sleep 1
	global_store_dwordx2 v[3:4], v[21:22], off
	v_mov_b32_e32 v19, s2
	v_mov_b32_e32 v20, s3
	s_waitcnt vmcnt(0)
	global_atomic_cmpswap_x2 v[7:8], v2, v[19:22], s[16:17] offset:24 glc
	s_waitcnt vmcnt(0)
	v_cmp_eq_u64_e32 vcc, v[7:8], v[21:22]
	v_mov_b32_e32 v22, v8
	s_or_b64 s[24:25], vcc, s[24:25]
	v_mov_b32_e32 v21, v7
	s_andn2_b64 exec, exec, s[24:25]
	s_cbranch_execnz .LBB6_202
	s_branch .LBB6_120
.LBB6_203:                              ;   in Loop: Header=BB6_6 Depth=2
	s_branch .LBB6_260
.LBB6_204:                              ;   in Loop: Header=BB6_6 Depth=2
                                        ; implicit-def: $vgpr15_vgpr16
	s_cbranch_execz .LBB6_118
; %bb.205:                              ;   in Loop: Header=BB6_6 Depth=2
	v_readfirstlane_b32 s2, v37
	v_mov_b32_e32 v3, 0
	v_mov_b32_e32 v4, 0
	v_cmp_eq_u32_e64 s[2:3], s2, v37
	s_and_saveexec_b64 s[18:19], s[2:3]
	s_cbranch_execz .LBB6_211
; %bb.206:                              ;   in Loop: Header=BB6_6 Depth=2
	global_load_dwordx2 v[17:18], v2, s[16:17] offset:24 glc
	s_waitcnt vmcnt(0)
	buffer_wbinvl1_vol
	global_load_dwordx2 v[3:4], v2, s[16:17] offset:40
	global_load_dwordx2 v[7:8], v2, s[16:17]
	s_waitcnt vmcnt(1)
	v_and_b32_e32 v1, v3, v17
	v_and_b32_e32 v3, v4, v18
	v_mul_lo_u32 v3, v3, 24
	v_mul_hi_u32 v4, v1, 24
	v_mul_lo_u32 v1, v1, 24
	v_add_u32_e32 v4, v4, v3
	s_waitcnt vmcnt(0)
	v_add_co_u32_e32 v3, vcc, v7, v1
	v_addc_co_u32_e32 v4, vcc, v8, v4, vcc
	global_load_dwordx2 v[15:16], v[3:4], off glc
	s_waitcnt vmcnt(0)
	global_atomic_cmpswap_x2 v[3:4], v2, v[15:18], s[16:17] offset:24 glc
	s_waitcnt vmcnt(0)
	buffer_wbinvl1_vol
	v_cmp_ne_u64_e32 vcc, v[3:4], v[17:18]
	s_and_saveexec_b64 s[20:21], vcc
	s_cbranch_execz .LBB6_210
; %bb.207:                              ;   in Loop: Header=BB6_6 Depth=2
	s_mov_b64 s[22:23], 0
.LBB6_208:                              ;   Parent Loop BB6_3 Depth=1
                                        ;     Parent Loop BB6_6 Depth=2
                                        ; =>    This Inner Loop Header: Depth=3
	s_sleep 1
	global_load_dwordx2 v[7:8], v2, s[16:17] offset:40
	global_load_dwordx2 v[11:12], v2, s[16:17]
	v_mov_b32_e32 v18, v4
	v_mov_b32_e32 v17, v3
	s_waitcnt vmcnt(1)
	v_and_b32_e32 v1, v7, v17
	s_waitcnt vmcnt(0)
	v_mad_u64_u32 v[3:4], s[24:25], v1, 24, v[11:12]
	v_and_b32_e32 v7, v8, v18
	v_mov_b32_e32 v1, v4
	v_mad_u64_u32 v[7:8], s[24:25], v7, 24, v[1:2]
	v_mov_b32_e32 v4, v7
	global_load_dwordx2 v[15:16], v[3:4], off glc
	s_waitcnt vmcnt(0)
	global_atomic_cmpswap_x2 v[3:4], v2, v[15:18], s[16:17] offset:24 glc
	s_waitcnt vmcnt(0)
	buffer_wbinvl1_vol
	v_cmp_eq_u64_e32 vcc, v[3:4], v[17:18]
	s_or_b64 s[22:23], vcc, s[22:23]
	s_andn2_b64 exec, exec, s[22:23]
	s_cbranch_execnz .LBB6_208
; %bb.209:                              ;   in Loop: Header=BB6_6 Depth=2
	s_or_b64 exec, exec, s[22:23]
.LBB6_210:                              ;   in Loop: Header=BB6_6 Depth=2
	s_or_b64 exec, exec, s[20:21]
.LBB6_211:                              ;   in Loop: Header=BB6_6 Depth=2
	s_or_b64 exec, exec, s[18:19]
	global_load_dwordx2 v[7:8], v2, s[16:17] offset:40
	global_load_dwordx4 v[15:18], v2, s[16:17]
	v_readfirstlane_b32 s19, v4
	v_readfirstlane_b32 s18, v3
	s_mov_b64 s[20:21], exec
	s_waitcnt vmcnt(1)
	v_readfirstlane_b32 s22, v7
	v_readfirstlane_b32 s23, v8
	s_and_b64 s[22:23], s[22:23], s[18:19]
	s_mul_i32 s24, s23, 24
	s_mul_hi_u32 s25, s22, 24
	s_mul_i32 s26, s22, 24
	s_add_i32 s24, s25, s24
	v_mov_b32_e32 v1, s24
	s_waitcnt vmcnt(0)
	v_add_co_u32_e32 v3, vcc, s26, v15
	v_addc_co_u32_e32 v4, vcc, v16, v1, vcc
	s_and_saveexec_b64 s[24:25], s[2:3]
	s_cbranch_execz .LBB6_213
; %bb.212:                              ;   in Loop: Header=BB6_6 Depth=2
	v_mov_b32_e32 v11, s20
	v_mov_b32_e32 v12, s21
	global_store_dwordx4 v[3:4], v[11:14], off offset:8
.LBB6_213:                              ;   in Loop: Header=BB6_6 Depth=2
	s_or_b64 exec, exec, s[24:25]
	s_lshl_b64 s[20:21], s[22:23], 12
	v_mov_b32_e32 v1, s21
	v_add_co_u32_e32 v23, vcc, s20, v17
	v_addc_co_u32_e32 v24, vcc, v18, v1, vcc
	v_and_or_b32 v19, v19, s33, 32
	v_mov_b32_e32 v21, v2
	v_mov_b32_e32 v22, v2
	v_readfirstlane_b32 s20, v23
	v_readfirstlane_b32 s21, v24
	s_nop 4
	global_store_dwordx4 v38, v[19:22], s[20:21]
	s_nop 0
	v_mov_b32_e32 v20, s7
	v_mov_b32_e32 v19, s6
	;; [unrolled: 1-line block ×4, first 2 shown]
	global_store_dwordx4 v38, v[17:20], s[20:21] offset:16
	global_store_dwordx4 v38, v[17:20], s[20:21] offset:32
	global_store_dwordx4 v38, v[17:20], s[20:21] offset:48
	s_and_saveexec_b64 s[20:21], s[2:3]
	s_cbranch_execz .LBB6_221
; %bb.214:                              ;   in Loop: Header=BB6_6 Depth=2
	global_load_dwordx2 v[19:20], v2, s[16:17] offset:32 glc
	global_load_dwordx2 v[7:8], v2, s[16:17] offset:40
	v_mov_b32_e32 v17, s18
	v_mov_b32_e32 v18, s19
	s_waitcnt vmcnt(0)
	v_readfirstlane_b32 s22, v7
	v_readfirstlane_b32 s23, v8
	s_and_b64 s[22:23], s[22:23], s[18:19]
	s_mul_i32 s23, s23, 24
	s_mul_hi_u32 s24, s22, 24
	s_mul_i32 s22, s22, 24
	s_add_i32 s23, s24, s23
	v_mov_b32_e32 v1, s23
	v_add_co_u32_e32 v7, vcc, s22, v15
	v_addc_co_u32_e32 v8, vcc, v16, v1, vcc
	global_store_dwordx2 v[7:8], v[19:20], off
	s_waitcnt vmcnt(0)
	global_atomic_cmpswap_x2 v[17:18], v2, v[17:20], s[16:17] offset:32 glc
	s_waitcnt vmcnt(0)
	v_cmp_ne_u64_e32 vcc, v[17:18], v[19:20]
	s_and_saveexec_b64 s[22:23], vcc
	s_cbranch_execz .LBB6_217
; %bb.215:                              ;   in Loop: Header=BB6_6 Depth=2
	s_mov_b64 s[24:25], 0
.LBB6_216:                              ;   Parent Loop BB6_3 Depth=1
                                        ;     Parent Loop BB6_6 Depth=2
                                        ; =>    This Inner Loop Header: Depth=3
	s_sleep 1
	global_store_dwordx2 v[7:8], v[17:18], off
	v_mov_b32_e32 v15, s18
	v_mov_b32_e32 v16, s19
	s_waitcnt vmcnt(0)
	global_atomic_cmpswap_x2 v[11:12], v2, v[15:18], s[16:17] offset:32 glc
	s_waitcnt vmcnt(0)
	v_cmp_eq_u64_e32 vcc, v[11:12], v[17:18]
	v_mov_b32_e32 v18, v12
	s_or_b64 s[24:25], vcc, s[24:25]
	v_mov_b32_e32 v17, v11
	s_andn2_b64 exec, exec, s[24:25]
	s_cbranch_execnz .LBB6_216
.LBB6_217:                              ;   in Loop: Header=BB6_6 Depth=2
	s_or_b64 exec, exec, s[22:23]
	global_load_dwordx2 v[7:8], v2, s[16:17] offset:16
	s_mov_b64 s[24:25], exec
	v_mbcnt_lo_u32_b32 v1, s24, 0
	v_mbcnt_hi_u32_b32 v1, s25, v1
	v_cmp_eq_u32_e32 vcc, 0, v1
	s_and_saveexec_b64 s[22:23], vcc
	s_cbranch_execz .LBB6_219
; %bb.218:                              ;   in Loop: Header=BB6_6 Depth=2
	s_bcnt1_i32_b64 s24, s[24:25]
	v_mov_b32_e32 v1, s24
	s_waitcnt vmcnt(0)
	global_atomic_add_x2 v[7:8], v[1:2], off offset:8
.LBB6_219:                              ;   in Loop: Header=BB6_6 Depth=2
	s_or_b64 exec, exec, s[22:23]
	s_waitcnt vmcnt(0)
	global_load_dwordx2 v[11:12], v[7:8], off offset:16
	s_waitcnt vmcnt(0)
	v_cmp_eq_u64_e32 vcc, 0, v[11:12]
	s_cbranch_vccnz .LBB6_221
; %bb.220:                              ;   in Loop: Header=BB6_6 Depth=2
	global_load_dword v1, v[7:8], off offset:24
	s_waitcnt vmcnt(0)
	v_readfirstlane_b32 s22, v1
	s_and_b32 m0, s22, 0xffffff
	global_store_dwordx2 v[11:12], v[1:2], off
	s_sendmsg sendmsg(MSG_INTERRUPT)
.LBB6_221:                              ;   in Loop: Header=BB6_6 Depth=2
	s_or_b64 exec, exec, s[20:21]
	v_add_co_u32_e32 v7, vcc, v23, v38
	v_addc_co_u32_e32 v8, vcc, 0, v24, vcc
	s_branch .LBB6_225
.LBB6_222:                              ;   in Loop: Header=BB6_225 Depth=3
	s_or_b64 exec, exec, s[20:21]
	v_readfirstlane_b32 s20, v1
	s_cmp_eq_u32 s20, 0
	s_cbranch_scc1 .LBB6_224
; %bb.223:                              ;   in Loop: Header=BB6_225 Depth=3
	s_sleep 1
	s_cbranch_execnz .LBB6_225
	s_branch .LBB6_227
.LBB6_224:                              ;   in Loop: Header=BB6_6 Depth=2
	s_branch .LBB6_227
.LBB6_225:                              ;   Parent Loop BB6_3 Depth=1
                                        ;     Parent Loop BB6_6 Depth=2
                                        ; =>    This Inner Loop Header: Depth=3
	v_mov_b32_e32 v1, 1
	s_and_saveexec_b64 s[20:21], s[2:3]
	s_cbranch_execz .LBB6_222
; %bb.226:                              ;   in Loop: Header=BB6_225 Depth=3
	global_load_dword v1, v[3:4], off offset:20 glc
	s_waitcnt vmcnt(0)
	buffer_wbinvl1_vol
	v_and_b32_e32 v1, 1, v1
	s_branch .LBB6_222
.LBB6_227:                              ;   in Loop: Header=BB6_6 Depth=2
	global_load_dwordx2 v[15:16], v[7:8], off
	s_and_saveexec_b64 s[20:21], s[2:3]
	s_cbranch_execz .LBB6_231
; %bb.228:                              ;   in Loop: Header=BB6_6 Depth=2
	global_load_dwordx2 v[3:4], v2, s[16:17] offset:40
	global_load_dwordx2 v[21:22], v2, s[16:17] offset:24 glc
	global_load_dwordx2 v[7:8], v2, s[16:17]
	s_waitcnt vmcnt(2)
	v_readfirstlane_b32 s22, v3
	v_readfirstlane_b32 s23, v4
	s_add_u32 s24, s22, 1
	s_addc_u32 s25, s23, 0
	s_add_u32 s2, s24, s18
	s_addc_u32 s3, s25, s19
	s_cmp_eq_u64 s[2:3], 0
	s_cselect_b32 s3, s25, s3
	s_cselect_b32 s2, s24, s2
	s_and_b64 s[18:19], s[2:3], s[22:23]
	s_mul_i32 s19, s19, 24
	s_mul_hi_u32 s22, s18, 24
	s_mul_i32 s18, s18, 24
	s_add_i32 s19, s22, s19
	v_mov_b32_e32 v1, s19
	s_waitcnt vmcnt(0)
	v_add_co_u32_e32 v3, vcc, s18, v7
	v_addc_co_u32_e32 v4, vcc, v8, v1, vcc
	v_mov_b32_e32 v19, s2
	global_store_dwordx2 v[3:4], v[21:22], off
	v_mov_b32_e32 v20, s3
	s_waitcnt vmcnt(0)
	global_atomic_cmpswap_x2 v[19:20], v2, v[19:22], s[16:17] offset:24 glc
	s_waitcnt vmcnt(0)
	v_cmp_ne_u64_e32 vcc, v[19:20], v[21:22]
	s_and_b64 exec, exec, vcc
	s_cbranch_execz .LBB6_231
; %bb.229:                              ;   in Loop: Header=BB6_6 Depth=2
	s_mov_b64 s[18:19], 0
.LBB6_230:                              ;   Parent Loop BB6_3 Depth=1
                                        ;     Parent Loop BB6_6 Depth=2
                                        ; =>    This Inner Loop Header: Depth=3
	s_sleep 1
	global_store_dwordx2 v[3:4], v[19:20], off
	v_mov_b32_e32 v17, s2
	v_mov_b32_e32 v18, s3
	s_waitcnt vmcnt(0)
	global_atomic_cmpswap_x2 v[7:8], v2, v[17:20], s[16:17] offset:24 glc
	s_waitcnt vmcnt(0)
	v_cmp_eq_u64_e32 vcc, v[7:8], v[19:20]
	v_mov_b32_e32 v20, v8
	s_or_b64 s[18:19], vcc, s[18:19]
	v_mov_b32_e32 v19, v7
	s_andn2_b64 exec, exec, s[18:19]
	s_cbranch_execnz .LBB6_230
.LBB6_231:                              ;   in Loop: Header=BB6_6 Depth=2
	s_or_b64 exec, exec, s[20:21]
	s_and_b64 vcc, exec, s[14:15]
	s_cbranch_vccnz .LBB6_119
.LBB6_232:                              ;   in Loop: Header=BB6_6 Depth=2
                                        ; implicit-def: $vgpr17_vgpr18
	s_cbranch_execz .LBB6_260
; %bb.233:                              ;   in Loop: Header=BB6_6 Depth=2
	v_readfirstlane_b32 s2, v37
	v_mov_b32_e32 v3, 0
	v_mov_b32_e32 v4, 0
	v_cmp_eq_u32_e64 s[2:3], s2, v37
	s_and_saveexec_b64 s[18:19], s[2:3]
	s_cbranch_execz .LBB6_239
; %bb.234:                              ;   in Loop: Header=BB6_6 Depth=2
	global_load_dwordx2 v[19:20], v2, s[16:17] offset:24 glc
	s_waitcnt vmcnt(0)
	buffer_wbinvl1_vol
	global_load_dwordx2 v[3:4], v2, s[16:17] offset:40
	global_load_dwordx2 v[7:8], v2, s[16:17]
	s_waitcnt vmcnt(1)
	v_and_b32_e32 v1, v3, v19
	v_and_b32_e32 v3, v4, v20
	v_mul_lo_u32 v3, v3, 24
	v_mul_hi_u32 v4, v1, 24
	v_mul_lo_u32 v1, v1, 24
	v_add_u32_e32 v4, v4, v3
	s_waitcnt vmcnt(0)
	v_add_co_u32_e32 v3, vcc, v7, v1
	v_addc_co_u32_e32 v4, vcc, v8, v4, vcc
	global_load_dwordx2 v[17:18], v[3:4], off glc
	s_waitcnt vmcnt(0)
	global_atomic_cmpswap_x2 v[3:4], v2, v[17:20], s[16:17] offset:24 glc
	s_waitcnt vmcnt(0)
	buffer_wbinvl1_vol
	v_cmp_ne_u64_e32 vcc, v[3:4], v[19:20]
	s_and_saveexec_b64 s[20:21], vcc
	s_cbranch_execz .LBB6_238
; %bb.235:                              ;   in Loop: Header=BB6_6 Depth=2
	s_mov_b64 s[22:23], 0
.LBB6_236:                              ;   Parent Loop BB6_3 Depth=1
                                        ;     Parent Loop BB6_6 Depth=2
                                        ; =>    This Inner Loop Header: Depth=3
	s_sleep 1
	global_load_dwordx2 v[7:8], v2, s[16:17] offset:40
	global_load_dwordx2 v[11:12], v2, s[16:17]
	v_mov_b32_e32 v20, v4
	v_mov_b32_e32 v19, v3
	s_waitcnt vmcnt(1)
	v_and_b32_e32 v1, v7, v19
	s_waitcnt vmcnt(0)
	v_mad_u64_u32 v[3:4], s[24:25], v1, 24, v[11:12]
	v_and_b32_e32 v7, v8, v20
	v_mov_b32_e32 v1, v4
	v_mad_u64_u32 v[7:8], s[24:25], v7, 24, v[1:2]
	v_mov_b32_e32 v4, v7
	global_load_dwordx2 v[17:18], v[3:4], off glc
	s_waitcnt vmcnt(0)
	global_atomic_cmpswap_x2 v[3:4], v2, v[17:20], s[16:17] offset:24 glc
	s_waitcnt vmcnt(0)
	buffer_wbinvl1_vol
	v_cmp_eq_u64_e32 vcc, v[3:4], v[19:20]
	s_or_b64 s[22:23], vcc, s[22:23]
	s_andn2_b64 exec, exec, s[22:23]
	s_cbranch_execnz .LBB6_236
; %bb.237:                              ;   in Loop: Header=BB6_6 Depth=2
	s_or_b64 exec, exec, s[22:23]
.LBB6_238:                              ;   in Loop: Header=BB6_6 Depth=2
	s_or_b64 exec, exec, s[20:21]
.LBB6_239:                              ;   in Loop: Header=BB6_6 Depth=2
	s_or_b64 exec, exec, s[18:19]
	global_load_dwordx2 v[7:8], v2, s[16:17] offset:40
	global_load_dwordx4 v[19:22], v2, s[16:17]
	v_readfirstlane_b32 s19, v4
	v_readfirstlane_b32 s18, v3
	s_mov_b64 s[20:21], exec
	s_waitcnt vmcnt(1)
	v_readfirstlane_b32 s22, v7
	v_readfirstlane_b32 s23, v8
	s_and_b64 s[22:23], s[22:23], s[18:19]
	s_mul_i32 s24, s23, 24
	s_mul_hi_u32 s25, s22, 24
	s_mul_i32 s26, s22, 24
	s_add_i32 s24, s25, s24
	v_mov_b32_e32 v1, s24
	s_waitcnt vmcnt(0)
	v_add_co_u32_e32 v3, vcc, s26, v19
	v_addc_co_u32_e32 v4, vcc, v20, v1, vcc
	s_and_saveexec_b64 s[24:25], s[2:3]
	s_cbranch_execz .LBB6_241
; %bb.240:                              ;   in Loop: Header=BB6_6 Depth=2
	v_mov_b32_e32 v11, s20
	v_mov_b32_e32 v12, s21
	global_store_dwordx4 v[3:4], v[11:14], off offset:8
.LBB6_241:                              ;   in Loop: Header=BB6_6 Depth=2
	s_or_b64 exec, exec, s[24:25]
	s_lshl_b64 s[20:21], s[22:23], 12
	v_mov_b32_e32 v1, s21
	v_add_co_u32_e32 v21, vcc, s20, v21
	v_addc_co_u32_e32 v22, vcc, v22, v1, vcc
	v_and_or_b32 v15, v15, s33, 32
	v_mov_b32_e32 v17, v2
	v_mov_b32_e32 v18, v2
	v_readfirstlane_b32 s20, v21
	v_readfirstlane_b32 s21, v22
	s_nop 4
	global_store_dwordx4 v38, v[15:18], s[20:21]
	s_nop 0
	v_mov_b32_e32 v18, s7
	v_mov_b32_e32 v17, s6
	;; [unrolled: 1-line block ×4, first 2 shown]
	global_store_dwordx4 v38, v[15:18], s[20:21] offset:16
	global_store_dwordx4 v38, v[15:18], s[20:21] offset:32
	;; [unrolled: 1-line block ×3, first 2 shown]
	s_and_saveexec_b64 s[20:21], s[2:3]
	s_cbranch_execz .LBB6_249
; %bb.242:                              ;   in Loop: Header=BB6_6 Depth=2
	global_load_dwordx2 v[25:26], v2, s[16:17] offset:32 glc
	global_load_dwordx2 v[7:8], v2, s[16:17] offset:40
	v_mov_b32_e32 v23, s18
	v_mov_b32_e32 v24, s19
	s_waitcnt vmcnt(0)
	v_readfirstlane_b32 s22, v7
	v_readfirstlane_b32 s23, v8
	s_and_b64 s[22:23], s[22:23], s[18:19]
	s_mul_i32 s23, s23, 24
	s_mul_hi_u32 s24, s22, 24
	s_mul_i32 s22, s22, 24
	s_add_i32 s23, s24, s23
	v_mov_b32_e32 v1, s23
	v_add_co_u32_e32 v7, vcc, s22, v19
	v_addc_co_u32_e32 v8, vcc, v20, v1, vcc
	global_store_dwordx2 v[7:8], v[25:26], off
	s_waitcnt vmcnt(0)
	global_atomic_cmpswap_x2 v[17:18], v2, v[23:26], s[16:17] offset:32 glc
	s_waitcnt vmcnt(0)
	v_cmp_ne_u64_e32 vcc, v[17:18], v[25:26]
	s_and_saveexec_b64 s[22:23], vcc
	s_cbranch_execz .LBB6_245
; %bb.243:                              ;   in Loop: Header=BB6_6 Depth=2
	s_mov_b64 s[24:25], 0
.LBB6_244:                              ;   Parent Loop BB6_3 Depth=1
                                        ;     Parent Loop BB6_6 Depth=2
                                        ; =>    This Inner Loop Header: Depth=3
	s_sleep 1
	global_store_dwordx2 v[7:8], v[17:18], off
	v_mov_b32_e32 v15, s18
	v_mov_b32_e32 v16, s19
	s_waitcnt vmcnt(0)
	global_atomic_cmpswap_x2 v[11:12], v2, v[15:18], s[16:17] offset:32 glc
	s_waitcnt vmcnt(0)
	v_cmp_eq_u64_e32 vcc, v[11:12], v[17:18]
	v_mov_b32_e32 v18, v12
	s_or_b64 s[24:25], vcc, s[24:25]
	v_mov_b32_e32 v17, v11
	s_andn2_b64 exec, exec, s[24:25]
	s_cbranch_execnz .LBB6_244
.LBB6_245:                              ;   in Loop: Header=BB6_6 Depth=2
	s_or_b64 exec, exec, s[22:23]
	global_load_dwordx2 v[7:8], v2, s[16:17] offset:16
	s_mov_b64 s[24:25], exec
	v_mbcnt_lo_u32_b32 v1, s24, 0
	v_mbcnt_hi_u32_b32 v1, s25, v1
	v_cmp_eq_u32_e32 vcc, 0, v1
	s_and_saveexec_b64 s[22:23], vcc
	s_cbranch_execz .LBB6_247
; %bb.246:                              ;   in Loop: Header=BB6_6 Depth=2
	s_bcnt1_i32_b64 s24, s[24:25]
	v_mov_b32_e32 v1, s24
	s_waitcnt vmcnt(0)
	global_atomic_add_x2 v[7:8], v[1:2], off offset:8
.LBB6_247:                              ;   in Loop: Header=BB6_6 Depth=2
	s_or_b64 exec, exec, s[22:23]
	s_waitcnt vmcnt(0)
	global_load_dwordx2 v[11:12], v[7:8], off offset:16
	s_waitcnt vmcnt(0)
	v_cmp_eq_u64_e32 vcc, 0, v[11:12]
	s_cbranch_vccnz .LBB6_249
; %bb.248:                              ;   in Loop: Header=BB6_6 Depth=2
	global_load_dword v1, v[7:8], off offset:24
	s_waitcnt vmcnt(0)
	v_readfirstlane_b32 s22, v1
	s_and_b32 m0, s22, 0xffffff
	global_store_dwordx2 v[11:12], v[1:2], off
	s_sendmsg sendmsg(MSG_INTERRUPT)
.LBB6_249:                              ;   in Loop: Header=BB6_6 Depth=2
	s_or_b64 exec, exec, s[20:21]
	v_add_co_u32_e32 v7, vcc, v21, v38
	v_addc_co_u32_e32 v8, vcc, 0, v22, vcc
	s_branch .LBB6_253
.LBB6_250:                              ;   in Loop: Header=BB6_253 Depth=3
	s_or_b64 exec, exec, s[20:21]
	v_readfirstlane_b32 s20, v1
	s_cmp_eq_u32 s20, 0
	s_cbranch_scc1 .LBB6_252
; %bb.251:                              ;   in Loop: Header=BB6_253 Depth=3
	s_sleep 1
	s_cbranch_execnz .LBB6_253
	s_branch .LBB6_255
.LBB6_252:                              ;   in Loop: Header=BB6_6 Depth=2
	s_branch .LBB6_255
.LBB6_253:                              ;   Parent Loop BB6_3 Depth=1
                                        ;     Parent Loop BB6_6 Depth=2
                                        ; =>    This Inner Loop Header: Depth=3
	v_mov_b32_e32 v1, 1
	s_and_saveexec_b64 s[20:21], s[2:3]
	s_cbranch_execz .LBB6_250
; %bb.254:                              ;   in Loop: Header=BB6_253 Depth=3
	global_load_dword v1, v[3:4], off offset:20 glc
	s_waitcnt vmcnt(0)
	buffer_wbinvl1_vol
	v_and_b32_e32 v1, 1, v1
	s_branch .LBB6_250
.LBB6_255:                              ;   in Loop: Header=BB6_6 Depth=2
	global_load_dwordx2 v[17:18], v[7:8], off
	s_and_saveexec_b64 s[20:21], s[2:3]
	s_cbranch_execz .LBB6_259
; %bb.256:                              ;   in Loop: Header=BB6_6 Depth=2
	global_load_dwordx2 v[3:4], v2, s[16:17] offset:40
	global_load_dwordx2 v[23:24], v2, s[16:17] offset:24 glc
	global_load_dwordx2 v[7:8], v2, s[16:17]
	s_waitcnt vmcnt(2)
	v_readfirstlane_b32 s22, v3
	v_readfirstlane_b32 s23, v4
	s_add_u32 s24, s22, 1
	s_addc_u32 s25, s23, 0
	s_add_u32 s2, s24, s18
	s_addc_u32 s3, s25, s19
	s_cmp_eq_u64 s[2:3], 0
	s_cselect_b32 s3, s25, s3
	s_cselect_b32 s2, s24, s2
	s_and_b64 s[18:19], s[2:3], s[22:23]
	s_mul_i32 s19, s19, 24
	s_mul_hi_u32 s22, s18, 24
	s_mul_i32 s18, s18, 24
	s_add_i32 s19, s22, s19
	v_mov_b32_e32 v1, s19
	s_waitcnt vmcnt(0)
	v_add_co_u32_e32 v3, vcc, s18, v7
	v_addc_co_u32_e32 v4, vcc, v8, v1, vcc
	v_mov_b32_e32 v21, s2
	global_store_dwordx2 v[3:4], v[23:24], off
	v_mov_b32_e32 v22, s3
	s_waitcnt vmcnt(0)
	global_atomic_cmpswap_x2 v[21:22], v2, v[21:24], s[16:17] offset:24 glc
	s_waitcnt vmcnt(0)
	v_cmp_ne_u64_e32 vcc, v[21:22], v[23:24]
	s_and_b64 exec, exec, vcc
	s_cbranch_execz .LBB6_259
; %bb.257:                              ;   in Loop: Header=BB6_6 Depth=2
	s_mov_b64 s[18:19], 0
.LBB6_258:                              ;   Parent Loop BB6_3 Depth=1
                                        ;     Parent Loop BB6_6 Depth=2
                                        ; =>    This Inner Loop Header: Depth=3
	s_sleep 1
	global_store_dwordx2 v[3:4], v[21:22], off
	v_mov_b32_e32 v19, s2
	v_mov_b32_e32 v20, s3
	s_waitcnt vmcnt(0)
	global_atomic_cmpswap_x2 v[7:8], v2, v[19:22], s[16:17] offset:24 glc
	s_waitcnt vmcnt(0)
	v_cmp_eq_u64_e32 vcc, v[7:8], v[21:22]
	v_mov_b32_e32 v22, v8
	s_or_b64 s[18:19], vcc, s[18:19]
	v_mov_b32_e32 v21, v7
	s_andn2_b64 exec, exec, s[18:19]
	s_cbranch_execnz .LBB6_258
.LBB6_259:                              ;   in Loop: Header=BB6_6 Depth=2
	s_or_b64 exec, exec, s[20:21]
.LBB6_260:                              ;   in Loop: Header=BB6_6 Depth=2
	v_readfirstlane_b32 s2, v37
	v_mov_b32_e32 v3, 0
	v_mov_b32_e32 v4, 0
	v_cmp_eq_u32_e64 s[2:3], s2, v37
	s_and_saveexec_b64 s[18:19], s[2:3]
	s_cbranch_execz .LBB6_266
; %bb.261:                              ;   in Loop: Header=BB6_6 Depth=2
	global_load_dwordx2 v[21:22], v2, s[16:17] offset:24 glc
	s_waitcnt vmcnt(0)
	buffer_wbinvl1_vol
	global_load_dwordx2 v[3:4], v2, s[16:17] offset:40
	global_load_dwordx2 v[7:8], v2, s[16:17]
	s_waitcnt vmcnt(1)
	v_and_b32_e32 v1, v3, v21
	v_and_b32_e32 v3, v4, v22
	v_mul_lo_u32 v3, v3, 24
	v_mul_hi_u32 v4, v1, 24
	v_mul_lo_u32 v1, v1, 24
	v_add_u32_e32 v4, v4, v3
	s_waitcnt vmcnt(0)
	v_add_co_u32_e32 v3, vcc, v7, v1
	v_addc_co_u32_e32 v4, vcc, v8, v4, vcc
	global_load_dwordx2 v[19:20], v[3:4], off glc
	s_waitcnt vmcnt(0)
	global_atomic_cmpswap_x2 v[3:4], v2, v[19:22], s[16:17] offset:24 glc
	s_waitcnt vmcnt(0)
	buffer_wbinvl1_vol
	v_cmp_ne_u64_e32 vcc, v[3:4], v[21:22]
	s_and_saveexec_b64 s[20:21], vcc
	s_cbranch_execz .LBB6_265
; %bb.262:                              ;   in Loop: Header=BB6_6 Depth=2
	s_mov_b64 s[22:23], 0
.LBB6_263:                              ;   Parent Loop BB6_3 Depth=1
                                        ;     Parent Loop BB6_6 Depth=2
                                        ; =>    This Inner Loop Header: Depth=3
	s_sleep 1
	global_load_dwordx2 v[7:8], v2, s[16:17] offset:40
	global_load_dwordx2 v[11:12], v2, s[16:17]
	v_mov_b32_e32 v22, v4
	v_mov_b32_e32 v21, v3
	s_waitcnt vmcnt(1)
	v_and_b32_e32 v1, v7, v21
	s_waitcnt vmcnt(0)
	v_mad_u64_u32 v[3:4], s[24:25], v1, 24, v[11:12]
	v_and_b32_e32 v7, v8, v22
	v_mov_b32_e32 v1, v4
	v_mad_u64_u32 v[7:8], s[24:25], v7, 24, v[1:2]
	v_mov_b32_e32 v4, v7
	global_load_dwordx2 v[19:20], v[3:4], off glc
	s_waitcnt vmcnt(0)
	global_atomic_cmpswap_x2 v[3:4], v2, v[19:22], s[16:17] offset:24 glc
	s_waitcnt vmcnt(0)
	buffer_wbinvl1_vol
	v_cmp_eq_u64_e32 vcc, v[3:4], v[21:22]
	s_or_b64 s[22:23], vcc, s[22:23]
	s_andn2_b64 exec, exec, s[22:23]
	s_cbranch_execnz .LBB6_263
; %bb.264:                              ;   in Loop: Header=BB6_6 Depth=2
	s_or_b64 exec, exec, s[22:23]
.LBB6_265:                              ;   in Loop: Header=BB6_6 Depth=2
	s_or_b64 exec, exec, s[20:21]
.LBB6_266:                              ;   in Loop: Header=BB6_6 Depth=2
	s_or_b64 exec, exec, s[18:19]
	global_load_dwordx2 v[7:8], v2, s[16:17] offset:40
	global_load_dwordx4 v[21:24], v2, s[16:17]
	v_readfirstlane_b32 s19, v4
	v_readfirstlane_b32 s18, v3
	s_mov_b64 s[20:21], exec
	s_waitcnt vmcnt(1)
	v_readfirstlane_b32 s22, v7
	v_readfirstlane_b32 s23, v8
	s_and_b64 s[22:23], s[22:23], s[18:19]
	s_mul_i32 s24, s23, 24
	s_mul_hi_u32 s25, s22, 24
	s_mul_i32 s26, s22, 24
	s_add_i32 s24, s25, s24
	v_mov_b32_e32 v1, s24
	s_waitcnt vmcnt(0)
	v_add_co_u32_e32 v3, vcc, s26, v21
	v_addc_co_u32_e32 v4, vcc, v22, v1, vcc
	s_and_saveexec_b64 s[24:25], s[2:3]
	s_cbranch_execz .LBB6_268
; %bb.267:                              ;   in Loop: Header=BB6_6 Depth=2
	v_mov_b32_e32 v11, s20
	v_mov_b32_e32 v12, s21
	global_store_dwordx4 v[3:4], v[11:14], off offset:8
.LBB6_268:                              ;   in Loop: Header=BB6_6 Depth=2
	s_or_b64 exec, exec, s[24:25]
	s_lshl_b64 s[20:21], s[22:23], 12
	v_mov_b32_e32 v1, s21
	v_add_co_u32_e32 v23, vcc, s20, v23
	v_addc_co_u32_e32 v24, vcc, v24, v1, vcc
	v_and_or_b32 v17, v17, s33, 32
	v_mov_b32_e32 v19, s36
	v_mov_b32_e32 v20, v2
	v_readfirstlane_b32 s20, v23
	v_readfirstlane_b32 s21, v24
	s_nop 4
	global_store_dwordx4 v38, v[17:20], s[20:21]
	s_nop 0
	v_mov_b32_e32 v18, s7
	v_mov_b32_e32 v17, s6
	;; [unrolled: 1-line block ×4, first 2 shown]
	global_store_dwordx4 v38, v[15:18], s[20:21] offset:16
	global_store_dwordx4 v38, v[15:18], s[20:21] offset:32
	;; [unrolled: 1-line block ×3, first 2 shown]
	s_and_saveexec_b64 s[20:21], s[2:3]
	s_cbranch_execz .LBB6_276
; %bb.269:                              ;   in Loop: Header=BB6_6 Depth=2
	global_load_dwordx2 v[19:20], v2, s[16:17] offset:32 glc
	global_load_dwordx2 v[7:8], v2, s[16:17] offset:40
	v_mov_b32_e32 v17, s18
	v_mov_b32_e32 v18, s19
	s_waitcnt vmcnt(0)
	v_readfirstlane_b32 s22, v7
	v_readfirstlane_b32 s23, v8
	s_and_b64 s[22:23], s[22:23], s[18:19]
	s_mul_i32 s23, s23, 24
	s_mul_hi_u32 s24, s22, 24
	s_mul_i32 s22, s22, 24
	s_add_i32 s23, s24, s23
	v_mov_b32_e32 v1, s23
	v_add_co_u32_e32 v7, vcc, s22, v21
	v_addc_co_u32_e32 v8, vcc, v22, v1, vcc
	global_store_dwordx2 v[7:8], v[19:20], off
	s_waitcnt vmcnt(0)
	global_atomic_cmpswap_x2 v[17:18], v2, v[17:20], s[16:17] offset:32 glc
	s_waitcnt vmcnt(0)
	v_cmp_ne_u64_e32 vcc, v[17:18], v[19:20]
	s_and_saveexec_b64 s[22:23], vcc
	s_cbranch_execz .LBB6_272
; %bb.270:                              ;   in Loop: Header=BB6_6 Depth=2
	s_mov_b64 s[24:25], 0
.LBB6_271:                              ;   Parent Loop BB6_3 Depth=1
                                        ;     Parent Loop BB6_6 Depth=2
                                        ; =>    This Inner Loop Header: Depth=3
	s_sleep 1
	global_store_dwordx2 v[7:8], v[17:18], off
	v_mov_b32_e32 v15, s18
	v_mov_b32_e32 v16, s19
	s_waitcnt vmcnt(0)
	global_atomic_cmpswap_x2 v[11:12], v2, v[15:18], s[16:17] offset:32 glc
	s_waitcnt vmcnt(0)
	v_cmp_eq_u64_e32 vcc, v[11:12], v[17:18]
	v_mov_b32_e32 v18, v12
	s_or_b64 s[24:25], vcc, s[24:25]
	v_mov_b32_e32 v17, v11
	s_andn2_b64 exec, exec, s[24:25]
	s_cbranch_execnz .LBB6_271
.LBB6_272:                              ;   in Loop: Header=BB6_6 Depth=2
	s_or_b64 exec, exec, s[22:23]
	global_load_dwordx2 v[7:8], v2, s[16:17] offset:16
	s_mov_b64 s[24:25], exec
	v_mbcnt_lo_u32_b32 v1, s24, 0
	v_mbcnt_hi_u32_b32 v1, s25, v1
	v_cmp_eq_u32_e32 vcc, 0, v1
	s_and_saveexec_b64 s[22:23], vcc
	s_cbranch_execz .LBB6_274
; %bb.273:                              ;   in Loop: Header=BB6_6 Depth=2
	s_bcnt1_i32_b64 s24, s[24:25]
	v_mov_b32_e32 v1, s24
	s_waitcnt vmcnt(0)
	global_atomic_add_x2 v[7:8], v[1:2], off offset:8
.LBB6_274:                              ;   in Loop: Header=BB6_6 Depth=2
	s_or_b64 exec, exec, s[22:23]
	s_waitcnt vmcnt(0)
	global_load_dwordx2 v[11:12], v[7:8], off offset:16
	s_waitcnt vmcnt(0)
	v_cmp_eq_u64_e32 vcc, 0, v[11:12]
	s_cbranch_vccnz .LBB6_276
; %bb.275:                              ;   in Loop: Header=BB6_6 Depth=2
	global_load_dword v1, v[7:8], off offset:24
	s_waitcnt vmcnt(0)
	v_readfirstlane_b32 s22, v1
	s_and_b32 m0, s22, 0xffffff
	global_store_dwordx2 v[11:12], v[1:2], off
	s_sendmsg sendmsg(MSG_INTERRUPT)
.LBB6_276:                              ;   in Loop: Header=BB6_6 Depth=2
	s_or_b64 exec, exec, s[20:21]
	v_add_co_u32_e32 v7, vcc, v23, v38
	v_addc_co_u32_e32 v8, vcc, 0, v24, vcc
	s_branch .LBB6_280
.LBB6_277:                              ;   in Loop: Header=BB6_280 Depth=3
	s_or_b64 exec, exec, s[20:21]
	v_readfirstlane_b32 s20, v1
	s_cmp_eq_u32 s20, 0
	s_cbranch_scc1 .LBB6_279
; %bb.278:                              ;   in Loop: Header=BB6_280 Depth=3
	s_sleep 1
	s_cbranch_execnz .LBB6_280
	s_branch .LBB6_282
.LBB6_279:                              ;   in Loop: Header=BB6_6 Depth=2
	s_branch .LBB6_282
.LBB6_280:                              ;   Parent Loop BB6_3 Depth=1
                                        ;     Parent Loop BB6_6 Depth=2
                                        ; =>    This Inner Loop Header: Depth=3
	v_mov_b32_e32 v1, 1
	s_and_saveexec_b64 s[20:21], s[2:3]
	s_cbranch_execz .LBB6_277
; %bb.281:                              ;   in Loop: Header=BB6_280 Depth=3
	global_load_dword v1, v[3:4], off offset:20 glc
	s_waitcnt vmcnt(0)
	buffer_wbinvl1_vol
	v_and_b32_e32 v1, 1, v1
	s_branch .LBB6_277
.LBB6_282:                              ;   in Loop: Header=BB6_6 Depth=2
	global_load_dwordx2 v[3:4], v[7:8], off
	s_and_saveexec_b64 s[20:21], s[2:3]
	s_cbranch_execz .LBB6_286
; %bb.283:                              ;   in Loop: Header=BB6_6 Depth=2
	global_load_dwordx2 v[7:8], v2, s[16:17] offset:40
	global_load_dwordx2 v[19:20], v2, s[16:17] offset:24 glc
	global_load_dwordx2 v[11:12], v2, s[16:17]
	s_waitcnt vmcnt(2)
	v_readfirstlane_b32 s22, v7
	v_readfirstlane_b32 s23, v8
	s_add_u32 s24, s22, 1
	s_addc_u32 s25, s23, 0
	s_add_u32 s2, s24, s18
	s_addc_u32 s3, s25, s19
	s_cmp_eq_u64 s[2:3], 0
	s_cselect_b32 s3, s25, s3
	s_cselect_b32 s2, s24, s2
	s_and_b64 s[18:19], s[2:3], s[22:23]
	s_mul_i32 s19, s19, 24
	s_mul_hi_u32 s22, s18, 24
	s_mul_i32 s18, s18, 24
	s_add_i32 s19, s22, s19
	v_mov_b32_e32 v1, s19
	s_waitcnt vmcnt(0)
	v_add_co_u32_e32 v7, vcc, s18, v11
	v_addc_co_u32_e32 v8, vcc, v12, v1, vcc
	v_mov_b32_e32 v17, s2
	global_store_dwordx2 v[7:8], v[19:20], off
	v_mov_b32_e32 v18, s3
	s_waitcnt vmcnt(0)
	global_atomic_cmpswap_x2 v[17:18], v2, v[17:20], s[16:17] offset:24 glc
	s_waitcnt vmcnt(0)
	v_cmp_ne_u64_e32 vcc, v[17:18], v[19:20]
	s_and_b64 exec, exec, vcc
	s_cbranch_execz .LBB6_286
; %bb.284:                              ;   in Loop: Header=BB6_6 Depth=2
	s_mov_b64 s[18:19], 0
.LBB6_285:                              ;   Parent Loop BB6_3 Depth=1
                                        ;     Parent Loop BB6_6 Depth=2
                                        ; =>    This Inner Loop Header: Depth=3
	s_sleep 1
	global_store_dwordx2 v[7:8], v[17:18], off
	v_mov_b32_e32 v15, s2
	v_mov_b32_e32 v16, s3
	s_waitcnt vmcnt(0)
	global_atomic_cmpswap_x2 v[11:12], v2, v[15:18], s[16:17] offset:24 glc
	s_waitcnt vmcnt(0)
	v_cmp_eq_u64_e32 vcc, v[11:12], v[17:18]
	v_mov_b32_e32 v18, v12
	s_or_b64 s[18:19], vcc, s[18:19]
	v_mov_b32_e32 v17, v11
	s_andn2_b64 exec, exec, s[18:19]
	s_cbranch_execnz .LBB6_285
.LBB6_286:                              ;   in Loop: Header=BB6_6 Depth=2
	s_or_b64 exec, exec, s[20:21]
	v_readfirstlane_b32 s2, v37
	v_mov_b32_e32 v7, 0
	v_mov_b32_e32 v8, 0
	v_cmp_eq_u32_e64 s[2:3], s2, v37
	s_and_saveexec_b64 s[18:19], s[2:3]
	s_cbranch_execz .LBB6_292
; %bb.287:                              ;   in Loop: Header=BB6_6 Depth=2
	global_load_dwordx2 v[17:18], v2, s[16:17] offset:24 glc
	s_waitcnt vmcnt(0)
	buffer_wbinvl1_vol
	global_load_dwordx2 v[7:8], v2, s[16:17] offset:40
	global_load_dwordx2 v[11:12], v2, s[16:17]
	s_waitcnt vmcnt(1)
	v_and_b32_e32 v1, v7, v17
	v_and_b32_e32 v7, v8, v18
	v_mul_lo_u32 v7, v7, 24
	v_mul_hi_u32 v8, v1, 24
	v_mul_lo_u32 v1, v1, 24
	v_add_u32_e32 v8, v8, v7
	s_waitcnt vmcnt(0)
	v_add_co_u32_e32 v7, vcc, v11, v1
	v_addc_co_u32_e32 v8, vcc, v12, v8, vcc
	global_load_dwordx2 v[15:16], v[7:8], off glc
	s_waitcnt vmcnt(0)
	global_atomic_cmpswap_x2 v[7:8], v2, v[15:18], s[16:17] offset:24 glc
	s_waitcnt vmcnt(0)
	buffer_wbinvl1_vol
	v_cmp_ne_u64_e32 vcc, v[7:8], v[17:18]
	s_and_saveexec_b64 s[20:21], vcc
	s_cbranch_execz .LBB6_291
; %bb.288:                              ;   in Loop: Header=BB6_6 Depth=2
	s_mov_b64 s[22:23], 0
.LBB6_289:                              ;   Parent Loop BB6_3 Depth=1
                                        ;     Parent Loop BB6_6 Depth=2
                                        ; =>    This Inner Loop Header: Depth=3
	s_sleep 1
	global_load_dwordx2 v[11:12], v2, s[16:17] offset:40
	global_load_dwordx2 v[15:16], v2, s[16:17]
	v_mov_b32_e32 v18, v8
	v_mov_b32_e32 v17, v7
	s_waitcnt vmcnt(1)
	v_and_b32_e32 v1, v11, v17
	s_waitcnt vmcnt(0)
	v_mad_u64_u32 v[7:8], s[24:25], v1, 24, v[15:16]
	v_and_b32_e32 v11, v12, v18
	v_mov_b32_e32 v1, v8
	v_mad_u64_u32 v[11:12], s[24:25], v11, 24, v[1:2]
	v_mov_b32_e32 v8, v11
	global_load_dwordx2 v[15:16], v[7:8], off glc
	s_waitcnt vmcnt(0)
	global_atomic_cmpswap_x2 v[7:8], v2, v[15:18], s[16:17] offset:24 glc
	s_waitcnt vmcnt(0)
	buffer_wbinvl1_vol
	v_cmp_eq_u64_e32 vcc, v[7:8], v[17:18]
	s_or_b64 s[22:23], vcc, s[22:23]
	s_andn2_b64 exec, exec, s[22:23]
	s_cbranch_execnz .LBB6_289
; %bb.290:                              ;   in Loop: Header=BB6_6 Depth=2
	s_or_b64 exec, exec, s[22:23]
.LBB6_291:                              ;   in Loop: Header=BB6_6 Depth=2
	s_or_b64 exec, exec, s[20:21]
.LBB6_292:                              ;   in Loop: Header=BB6_6 Depth=2
	s_or_b64 exec, exec, s[18:19]
	global_load_dwordx2 v[11:12], v2, s[16:17] offset:40
	global_load_dwordx4 v[15:18], v2, s[16:17]
	v_readfirstlane_b32 s19, v8
	v_readfirstlane_b32 s18, v7
	s_mov_b64 s[20:21], exec
	s_waitcnt vmcnt(1)
	v_readfirstlane_b32 s22, v11
	v_readfirstlane_b32 s23, v12
	s_and_b64 s[22:23], s[22:23], s[18:19]
	s_mul_i32 s24, s23, 24
	s_mul_hi_u32 s25, s22, 24
	s_mul_i32 s26, s22, 24
	s_add_i32 s24, s25, s24
	v_mov_b32_e32 v1, s24
	s_waitcnt vmcnt(0)
	v_add_co_u32_e32 v7, vcc, s26, v15
	v_addc_co_u32_e32 v8, vcc, v16, v1, vcc
	s_and_saveexec_b64 s[24:25], s[2:3]
	s_cbranch_execz .LBB6_294
; %bb.293:                              ;   in Loop: Header=BB6_6 Depth=2
	v_mov_b32_e32 v11, s20
	v_mov_b32_e32 v12, s21
	global_store_dwordx4 v[7:8], v[11:14], off offset:8
.LBB6_294:                              ;   in Loop: Header=BB6_6 Depth=2
	s_or_b64 exec, exec, s[24:25]
	s_lshl_b64 s[20:21], s[22:23], 12
	v_mov_b32_e32 v1, s21
	v_add_co_u32_e32 v19, vcc, s20, v17
	v_addc_co_u32_e32 v20, vcc, v18, v1, vcc
	v_mov_b32_e32 v24, s7
	v_and_or_b32 v3, v3, s33, 32
	v_readfirstlane_b32 s20, v19
	v_readfirstlane_b32 s21, v20
	v_mov_b32_e32 v23, s6
	v_mov_b32_e32 v22, s5
	;; [unrolled: 1-line block ×3, first 2 shown]
	s_nop 1
	global_store_dwordx4 v38, v[3:6], s[20:21]
	global_store_dwordx4 v38, v[21:24], s[20:21] offset:16
	global_store_dwordx4 v38, v[21:24], s[20:21] offset:32
	;; [unrolled: 1-line block ×3, first 2 shown]
	s_and_saveexec_b64 s[20:21], s[2:3]
	s_cbranch_execz .LBB6_302
; %bb.295:                              ;   in Loop: Header=BB6_6 Depth=2
	global_load_dwordx2 v[23:24], v2, s[16:17] offset:32 glc
	global_load_dwordx2 v[3:4], v2, s[16:17] offset:40
	v_mov_b32_e32 v21, s18
	v_mov_b32_e32 v22, s19
	s_waitcnt vmcnt(0)
	v_readfirstlane_b32 s22, v3
	v_readfirstlane_b32 s23, v4
	s_and_b64 s[22:23], s[22:23], s[18:19]
	s_mul_i32 s23, s23, 24
	s_mul_hi_u32 s24, s22, 24
	s_mul_i32 s22, s22, 24
	s_add_i32 s23, s24, s23
	v_mov_b32_e32 v1, s23
	v_add_co_u32_e32 v3, vcc, s22, v15
	v_addc_co_u32_e32 v4, vcc, v16, v1, vcc
	global_store_dwordx2 v[3:4], v[23:24], off
	s_waitcnt vmcnt(0)
	global_atomic_cmpswap_x2 v[17:18], v2, v[21:24], s[16:17] offset:32 glc
	s_waitcnt vmcnt(0)
	v_cmp_ne_u64_e32 vcc, v[17:18], v[23:24]
	s_and_saveexec_b64 s[22:23], vcc
	s_cbranch_execz .LBB6_298
; %bb.296:                              ;   in Loop: Header=BB6_6 Depth=2
	s_mov_b64 s[24:25], 0
.LBB6_297:                              ;   Parent Loop BB6_3 Depth=1
                                        ;     Parent Loop BB6_6 Depth=2
                                        ; =>    This Inner Loop Header: Depth=3
	s_sleep 1
	global_store_dwordx2 v[3:4], v[17:18], off
	v_mov_b32_e32 v15, s18
	v_mov_b32_e32 v16, s19
	s_waitcnt vmcnt(0)
	global_atomic_cmpswap_x2 v[11:12], v2, v[15:18], s[16:17] offset:32 glc
	s_waitcnt vmcnt(0)
	v_cmp_eq_u64_e32 vcc, v[11:12], v[17:18]
	v_mov_b32_e32 v18, v12
	s_or_b64 s[24:25], vcc, s[24:25]
	v_mov_b32_e32 v17, v11
	s_andn2_b64 exec, exec, s[24:25]
	s_cbranch_execnz .LBB6_297
.LBB6_298:                              ;   in Loop: Header=BB6_6 Depth=2
	s_or_b64 exec, exec, s[22:23]
	global_load_dwordx2 v[3:4], v2, s[16:17] offset:16
	s_mov_b64 s[24:25], exec
	v_mbcnt_lo_u32_b32 v1, s24, 0
	v_mbcnt_hi_u32_b32 v1, s25, v1
	v_cmp_eq_u32_e32 vcc, 0, v1
	s_and_saveexec_b64 s[22:23], vcc
	s_cbranch_execz .LBB6_300
; %bb.299:                              ;   in Loop: Header=BB6_6 Depth=2
	s_bcnt1_i32_b64 s24, s[24:25]
	v_mov_b32_e32 v1, s24
	s_waitcnt vmcnt(0)
	global_atomic_add_x2 v[3:4], v[1:2], off offset:8
.LBB6_300:                              ;   in Loop: Header=BB6_6 Depth=2
	s_or_b64 exec, exec, s[22:23]
	s_waitcnt vmcnt(0)
	global_load_dwordx2 v[11:12], v[3:4], off offset:16
	s_waitcnt vmcnt(0)
	v_cmp_eq_u64_e32 vcc, 0, v[11:12]
	s_cbranch_vccnz .LBB6_302
; %bb.301:                              ;   in Loop: Header=BB6_6 Depth=2
	global_load_dword v1, v[3:4], off offset:24
	s_waitcnt vmcnt(0)
	v_readfirstlane_b32 s22, v1
	s_and_b32 m0, s22, 0xffffff
	global_store_dwordx2 v[11:12], v[1:2], off
	s_sendmsg sendmsg(MSG_INTERRUPT)
.LBB6_302:                              ;   in Loop: Header=BB6_6 Depth=2
	s_or_b64 exec, exec, s[20:21]
	v_add_co_u32_e32 v3, vcc, v19, v38
	v_addc_co_u32_e32 v4, vcc, 0, v20, vcc
	s_branch .LBB6_306
.LBB6_303:                              ;   in Loop: Header=BB6_306 Depth=3
	s_or_b64 exec, exec, s[20:21]
	v_readfirstlane_b32 s20, v1
	s_cmp_eq_u32 s20, 0
	s_cbranch_scc1 .LBB6_305
; %bb.304:                              ;   in Loop: Header=BB6_306 Depth=3
	s_sleep 1
	s_cbranch_execnz .LBB6_306
	s_branch .LBB6_308
.LBB6_305:                              ;   in Loop: Header=BB6_6 Depth=2
	s_branch .LBB6_308
.LBB6_306:                              ;   Parent Loop BB6_3 Depth=1
                                        ;     Parent Loop BB6_6 Depth=2
                                        ; =>    This Inner Loop Header: Depth=3
	v_mov_b32_e32 v1, 1
	s_and_saveexec_b64 s[20:21], s[2:3]
	s_cbranch_execz .LBB6_303
; %bb.307:                              ;   in Loop: Header=BB6_306 Depth=3
	global_load_dword v1, v[7:8], off offset:20 glc
	s_waitcnt vmcnt(0)
	buffer_wbinvl1_vol
	v_and_b32_e32 v1, 1, v1
	s_branch .LBB6_303
.LBB6_308:                              ;   in Loop: Header=BB6_6 Depth=2
	global_load_dwordx2 v[15:16], v[3:4], off
	s_and_saveexec_b64 s[20:21], s[2:3]
	s_cbranch_execz .LBB6_312
; %bb.309:                              ;   in Loop: Header=BB6_6 Depth=2
	global_load_dwordx2 v[3:4], v2, s[16:17] offset:40
	global_load_dwordx2 v[21:22], v2, s[16:17] offset:24 glc
	global_load_dwordx2 v[7:8], v2, s[16:17]
	s_waitcnt vmcnt(2)
	v_readfirstlane_b32 s22, v3
	v_readfirstlane_b32 s23, v4
	s_add_u32 s24, s22, 1
	s_addc_u32 s25, s23, 0
	s_add_u32 s2, s24, s18
	s_addc_u32 s3, s25, s19
	s_cmp_eq_u64 s[2:3], 0
	s_cselect_b32 s3, s25, s3
	s_cselect_b32 s2, s24, s2
	s_and_b64 s[18:19], s[2:3], s[22:23]
	s_mul_i32 s19, s19, 24
	s_mul_hi_u32 s22, s18, 24
	s_mul_i32 s18, s18, 24
	s_add_i32 s19, s22, s19
	v_mov_b32_e32 v1, s19
	s_waitcnt vmcnt(0)
	v_add_co_u32_e32 v3, vcc, s18, v7
	v_addc_co_u32_e32 v4, vcc, v8, v1, vcc
	v_mov_b32_e32 v19, s2
	global_store_dwordx2 v[3:4], v[21:22], off
	v_mov_b32_e32 v20, s3
	s_waitcnt vmcnt(0)
	global_atomic_cmpswap_x2 v[19:20], v2, v[19:22], s[16:17] offset:24 glc
	s_waitcnt vmcnt(0)
	v_cmp_ne_u64_e32 vcc, v[19:20], v[21:22]
	s_and_b64 exec, exec, vcc
	s_cbranch_execz .LBB6_312
; %bb.310:                              ;   in Loop: Header=BB6_6 Depth=2
	s_mov_b64 s[18:19], 0
.LBB6_311:                              ;   Parent Loop BB6_3 Depth=1
                                        ;     Parent Loop BB6_6 Depth=2
                                        ; =>    This Inner Loop Header: Depth=3
	s_sleep 1
	global_store_dwordx2 v[3:4], v[19:20], off
	v_mov_b32_e32 v17, s2
	v_mov_b32_e32 v18, s3
	s_waitcnt vmcnt(0)
	global_atomic_cmpswap_x2 v[7:8], v2, v[17:20], s[16:17] offset:24 glc
	s_waitcnt vmcnt(0)
	v_cmp_eq_u64_e32 vcc, v[7:8], v[19:20]
	v_mov_b32_e32 v20, v8
	s_or_b64 s[18:19], vcc, s[18:19]
	v_mov_b32_e32 v19, v7
	s_andn2_b64 exec, exec, s[18:19]
	s_cbranch_execnz .LBB6_311
.LBB6_312:                              ;   in Loop: Header=BB6_6 Depth=2
	s_or_b64 exec, exec, s[20:21]
	v_readfirstlane_b32 s2, v37
	v_mov_b32_e32 v3, 0
	v_mov_b32_e32 v4, 0
	v_cmp_eq_u32_e64 s[2:3], s2, v37
	s_and_saveexec_b64 s[18:19], s[2:3]
	s_cbranch_execz .LBB6_318
; %bb.313:                              ;   in Loop: Header=BB6_6 Depth=2
	global_load_dwordx2 v[19:20], v2, s[16:17] offset:24 glc
	s_waitcnt vmcnt(0)
	buffer_wbinvl1_vol
	global_load_dwordx2 v[3:4], v2, s[16:17] offset:40
	global_load_dwordx2 v[7:8], v2, s[16:17]
	s_waitcnt vmcnt(1)
	v_and_b32_e32 v1, v3, v19
	v_and_b32_e32 v3, v4, v20
	v_mul_lo_u32 v3, v3, 24
	v_mul_hi_u32 v4, v1, 24
	v_mul_lo_u32 v1, v1, 24
	v_add_u32_e32 v4, v4, v3
	s_waitcnt vmcnt(0)
	v_add_co_u32_e32 v3, vcc, v7, v1
	v_addc_co_u32_e32 v4, vcc, v8, v4, vcc
	global_load_dwordx2 v[17:18], v[3:4], off glc
	s_waitcnt vmcnt(0)
	global_atomic_cmpswap_x2 v[3:4], v2, v[17:20], s[16:17] offset:24 glc
	s_waitcnt vmcnt(0)
	buffer_wbinvl1_vol
	v_cmp_ne_u64_e32 vcc, v[3:4], v[19:20]
	s_and_saveexec_b64 s[20:21], vcc
	s_cbranch_execz .LBB6_317
; %bb.314:                              ;   in Loop: Header=BB6_6 Depth=2
	s_mov_b64 s[22:23], 0
.LBB6_315:                              ;   Parent Loop BB6_3 Depth=1
                                        ;     Parent Loop BB6_6 Depth=2
                                        ; =>    This Inner Loop Header: Depth=3
	s_sleep 1
	global_load_dwordx2 v[7:8], v2, s[16:17] offset:40
	global_load_dwordx2 v[11:12], v2, s[16:17]
	v_mov_b32_e32 v20, v4
	v_mov_b32_e32 v19, v3
	s_waitcnt vmcnt(1)
	v_and_b32_e32 v1, v7, v19
	s_waitcnt vmcnt(0)
	v_mad_u64_u32 v[3:4], s[24:25], v1, 24, v[11:12]
	v_and_b32_e32 v7, v8, v20
	v_mov_b32_e32 v1, v4
	v_mad_u64_u32 v[7:8], s[24:25], v7, 24, v[1:2]
	v_mov_b32_e32 v4, v7
	global_load_dwordx2 v[17:18], v[3:4], off glc
	s_waitcnt vmcnt(0)
	global_atomic_cmpswap_x2 v[3:4], v2, v[17:20], s[16:17] offset:24 glc
	s_waitcnt vmcnt(0)
	buffer_wbinvl1_vol
	v_cmp_eq_u64_e32 vcc, v[3:4], v[19:20]
	s_or_b64 s[22:23], vcc, s[22:23]
	s_andn2_b64 exec, exec, s[22:23]
	s_cbranch_execnz .LBB6_315
; %bb.316:                              ;   in Loop: Header=BB6_6 Depth=2
	s_or_b64 exec, exec, s[22:23]
.LBB6_317:                              ;   in Loop: Header=BB6_6 Depth=2
	s_or_b64 exec, exec, s[20:21]
.LBB6_318:                              ;   in Loop: Header=BB6_6 Depth=2
	s_or_b64 exec, exec, s[18:19]
	global_load_dwordx2 v[7:8], v2, s[16:17] offset:40
	global_load_dwordx4 v[19:22], v2, s[16:17]
	v_readfirstlane_b32 s19, v4
	v_readfirstlane_b32 s18, v3
	s_mov_b64 s[20:21], exec
	s_waitcnt vmcnt(1)
	v_readfirstlane_b32 s22, v7
	v_readfirstlane_b32 s23, v8
	s_and_b64 s[22:23], s[22:23], s[18:19]
	s_mul_i32 s24, s23, 24
	s_mul_hi_u32 s25, s22, 24
	s_mul_i32 s26, s22, 24
	s_add_i32 s24, s25, s24
	v_mov_b32_e32 v1, s24
	s_waitcnt vmcnt(0)
	v_add_co_u32_e32 v3, vcc, s26, v19
	v_addc_co_u32_e32 v4, vcc, v20, v1, vcc
	s_and_saveexec_b64 s[24:25], s[2:3]
	s_cbranch_execz .LBB6_320
; %bb.319:                              ;   in Loop: Header=BB6_6 Depth=2
	v_mov_b32_e32 v11, s20
	v_mov_b32_e32 v12, s21
	global_store_dwordx4 v[3:4], v[11:14], off offset:8
.LBB6_320:                              ;   in Loop: Header=BB6_6 Depth=2
	s_or_b64 exec, exec, s[24:25]
	s_lshl_b64 s[20:21], s[22:23], 12
	v_mov_b32_e32 v1, s21
	v_add_co_u32_e32 v21, vcc, s20, v21
	v_addc_co_u32_e32 v22, vcc, v22, v1, vcc
	v_and_or_b32 v15, v15, s33, 32
	v_mov_b32_e32 v17, s36
	v_mov_b32_e32 v18, v2
	v_readfirstlane_b32 s20, v21
	v_readfirstlane_b32 s21, v22
	s_nop 4
	global_store_dwordx4 v38, v[15:18], s[20:21]
	s_nop 0
	v_mov_b32_e32 v18, s7
	v_mov_b32_e32 v17, s6
	;; [unrolled: 1-line block ×4, first 2 shown]
	global_store_dwordx4 v38, v[15:18], s[20:21] offset:16
	global_store_dwordx4 v38, v[15:18], s[20:21] offset:32
	;; [unrolled: 1-line block ×3, first 2 shown]
	s_and_saveexec_b64 s[20:21], s[2:3]
	s_cbranch_execz .LBB6_328
; %bb.321:                              ;   in Loop: Header=BB6_6 Depth=2
	global_load_dwordx2 v[25:26], v2, s[16:17] offset:32 glc
	global_load_dwordx2 v[7:8], v2, s[16:17] offset:40
	v_mov_b32_e32 v23, s18
	v_mov_b32_e32 v24, s19
	s_waitcnt vmcnt(0)
	v_readfirstlane_b32 s22, v7
	v_readfirstlane_b32 s23, v8
	s_and_b64 s[22:23], s[22:23], s[18:19]
	s_mul_i32 s23, s23, 24
	s_mul_hi_u32 s24, s22, 24
	s_mul_i32 s22, s22, 24
	s_add_i32 s23, s24, s23
	v_mov_b32_e32 v1, s23
	v_add_co_u32_e32 v7, vcc, s22, v19
	v_addc_co_u32_e32 v8, vcc, v20, v1, vcc
	global_store_dwordx2 v[7:8], v[25:26], off
	s_waitcnt vmcnt(0)
	global_atomic_cmpswap_x2 v[17:18], v2, v[23:26], s[16:17] offset:32 glc
	s_waitcnt vmcnt(0)
	v_cmp_ne_u64_e32 vcc, v[17:18], v[25:26]
	s_and_saveexec_b64 s[22:23], vcc
	s_cbranch_execz .LBB6_324
; %bb.322:                              ;   in Loop: Header=BB6_6 Depth=2
	s_mov_b64 s[24:25], 0
.LBB6_323:                              ;   Parent Loop BB6_3 Depth=1
                                        ;     Parent Loop BB6_6 Depth=2
                                        ; =>    This Inner Loop Header: Depth=3
	s_sleep 1
	global_store_dwordx2 v[7:8], v[17:18], off
	v_mov_b32_e32 v15, s18
	v_mov_b32_e32 v16, s19
	s_waitcnt vmcnt(0)
	global_atomic_cmpswap_x2 v[11:12], v2, v[15:18], s[16:17] offset:32 glc
	s_waitcnt vmcnt(0)
	v_cmp_eq_u64_e32 vcc, v[11:12], v[17:18]
	v_mov_b32_e32 v18, v12
	s_or_b64 s[24:25], vcc, s[24:25]
	v_mov_b32_e32 v17, v11
	s_andn2_b64 exec, exec, s[24:25]
	s_cbranch_execnz .LBB6_323
.LBB6_324:                              ;   in Loop: Header=BB6_6 Depth=2
	s_or_b64 exec, exec, s[22:23]
	global_load_dwordx2 v[7:8], v2, s[16:17] offset:16
	s_mov_b64 s[24:25], exec
	v_mbcnt_lo_u32_b32 v1, s24, 0
	v_mbcnt_hi_u32_b32 v1, s25, v1
	v_cmp_eq_u32_e32 vcc, 0, v1
	s_and_saveexec_b64 s[22:23], vcc
	s_cbranch_execz .LBB6_326
; %bb.325:                              ;   in Loop: Header=BB6_6 Depth=2
	s_bcnt1_i32_b64 s24, s[24:25]
	v_mov_b32_e32 v1, s24
	s_waitcnt vmcnt(0)
	global_atomic_add_x2 v[7:8], v[1:2], off offset:8
.LBB6_326:                              ;   in Loop: Header=BB6_6 Depth=2
	s_or_b64 exec, exec, s[22:23]
	s_waitcnt vmcnt(0)
	global_load_dwordx2 v[11:12], v[7:8], off offset:16
	s_waitcnt vmcnt(0)
	v_cmp_eq_u64_e32 vcc, 0, v[11:12]
	s_cbranch_vccnz .LBB6_328
; %bb.327:                              ;   in Loop: Header=BB6_6 Depth=2
	global_load_dword v1, v[7:8], off offset:24
	s_waitcnt vmcnt(0)
	v_readfirstlane_b32 s22, v1
	s_and_b32 m0, s22, 0xffffff
	global_store_dwordx2 v[11:12], v[1:2], off
	s_sendmsg sendmsg(MSG_INTERRUPT)
.LBB6_328:                              ;   in Loop: Header=BB6_6 Depth=2
	s_or_b64 exec, exec, s[20:21]
	v_add_co_u32_e32 v7, vcc, v21, v38
	v_addc_co_u32_e32 v8, vcc, 0, v22, vcc
	s_branch .LBB6_332
.LBB6_329:                              ;   in Loop: Header=BB6_332 Depth=3
	s_or_b64 exec, exec, s[20:21]
	v_readfirstlane_b32 s20, v1
	s_cmp_eq_u32 s20, 0
	s_cbranch_scc1 .LBB6_331
; %bb.330:                              ;   in Loop: Header=BB6_332 Depth=3
	s_sleep 1
	s_cbranch_execnz .LBB6_332
	s_branch .LBB6_334
.LBB6_331:                              ;   in Loop: Header=BB6_6 Depth=2
	s_branch .LBB6_334
.LBB6_332:                              ;   Parent Loop BB6_3 Depth=1
                                        ;     Parent Loop BB6_6 Depth=2
                                        ; =>    This Inner Loop Header: Depth=3
	v_mov_b32_e32 v1, 1
	s_and_saveexec_b64 s[20:21], s[2:3]
	s_cbranch_execz .LBB6_329
; %bb.333:                              ;   in Loop: Header=BB6_332 Depth=3
	global_load_dword v1, v[3:4], off offset:20 glc
	s_waitcnt vmcnt(0)
	buffer_wbinvl1_vol
	v_and_b32_e32 v1, 1, v1
	s_branch .LBB6_329
.LBB6_334:                              ;   in Loop: Header=BB6_6 Depth=2
	global_load_dwordx2 v[7:8], v[7:8], off
	s_and_saveexec_b64 s[20:21], s[2:3]
	s_cbranch_execz .LBB6_338
; %bb.335:                              ;   in Loop: Header=BB6_6 Depth=2
	global_load_dwordx2 v[3:4], v2, s[16:17] offset:40
	global_load_dwordx2 v[19:20], v2, s[16:17] offset:24 glc
	global_load_dwordx2 v[11:12], v2, s[16:17]
	s_waitcnt vmcnt(2)
	v_readfirstlane_b32 s22, v3
	v_readfirstlane_b32 s23, v4
	s_add_u32 s24, s22, 1
	s_addc_u32 s25, s23, 0
	s_add_u32 s2, s24, s18
	s_addc_u32 s3, s25, s19
	s_cmp_eq_u64 s[2:3], 0
	s_cselect_b32 s3, s25, s3
	s_cselect_b32 s2, s24, s2
	s_and_b64 s[18:19], s[2:3], s[22:23]
	s_mul_i32 s19, s19, 24
	s_mul_hi_u32 s22, s18, 24
	s_mul_i32 s18, s18, 24
	s_add_i32 s19, s22, s19
	v_mov_b32_e32 v1, s19
	s_waitcnt vmcnt(0)
	v_add_co_u32_e32 v3, vcc, s18, v11
	v_addc_co_u32_e32 v4, vcc, v12, v1, vcc
	v_mov_b32_e32 v17, s2
	global_store_dwordx2 v[3:4], v[19:20], off
	v_mov_b32_e32 v18, s3
	s_waitcnt vmcnt(0)
	global_atomic_cmpswap_x2 v[17:18], v2, v[17:20], s[16:17] offset:24 glc
	s_waitcnt vmcnt(0)
	v_cmp_ne_u64_e32 vcc, v[17:18], v[19:20]
	s_and_b64 exec, exec, vcc
	s_cbranch_execz .LBB6_338
; %bb.336:                              ;   in Loop: Header=BB6_6 Depth=2
	s_mov_b64 s[18:19], 0
.LBB6_337:                              ;   Parent Loop BB6_3 Depth=1
                                        ;     Parent Loop BB6_6 Depth=2
                                        ; =>    This Inner Loop Header: Depth=3
	s_sleep 1
	global_store_dwordx2 v[3:4], v[17:18], off
	v_mov_b32_e32 v15, s2
	v_mov_b32_e32 v16, s3
	s_waitcnt vmcnt(0)
	global_atomic_cmpswap_x2 v[11:12], v2, v[15:18], s[16:17] offset:24 glc
	s_waitcnt vmcnt(0)
	v_cmp_eq_u64_e32 vcc, v[11:12], v[17:18]
	v_mov_b32_e32 v18, v12
	s_or_b64 s[18:19], vcc, s[18:19]
	v_mov_b32_e32 v17, v11
	s_andn2_b64 exec, exec, s[18:19]
	s_cbranch_execnz .LBB6_337
.LBB6_338:                              ;   in Loop: Header=BB6_6 Depth=2
	s_or_b64 exec, exec, s[20:21]
	v_readfirstlane_b32 s2, v37
	v_mov_b32_e32 v3, 0
	v_mov_b32_e32 v4, 0
	v_cmp_eq_u32_e64 s[2:3], s2, v37
	s_and_saveexec_b64 s[18:19], s[2:3]
	s_cbranch_execz .LBB6_344
; %bb.339:                              ;   in Loop: Header=BB6_6 Depth=2
	global_load_dwordx2 v[17:18], v2, s[16:17] offset:24 glc
	s_waitcnt vmcnt(0)
	buffer_wbinvl1_vol
	global_load_dwordx2 v[3:4], v2, s[16:17] offset:40
	global_load_dwordx2 v[11:12], v2, s[16:17]
	s_waitcnt vmcnt(1)
	v_and_b32_e32 v1, v3, v17
	v_and_b32_e32 v3, v4, v18
	v_mul_lo_u32 v3, v3, 24
	v_mul_hi_u32 v4, v1, 24
	v_mul_lo_u32 v1, v1, 24
	v_add_u32_e32 v4, v4, v3
	s_waitcnt vmcnt(0)
	v_add_co_u32_e32 v3, vcc, v11, v1
	v_addc_co_u32_e32 v4, vcc, v12, v4, vcc
	global_load_dwordx2 v[15:16], v[3:4], off glc
	s_waitcnt vmcnt(0)
	global_atomic_cmpswap_x2 v[3:4], v2, v[15:18], s[16:17] offset:24 glc
	s_waitcnt vmcnt(0)
	buffer_wbinvl1_vol
	v_cmp_ne_u64_e32 vcc, v[3:4], v[17:18]
	s_and_saveexec_b64 s[20:21], vcc
	s_cbranch_execz .LBB6_343
; %bb.340:                              ;   in Loop: Header=BB6_6 Depth=2
	s_mov_b64 s[22:23], 0
.LBB6_341:                              ;   Parent Loop BB6_3 Depth=1
                                        ;     Parent Loop BB6_6 Depth=2
                                        ; =>    This Inner Loop Header: Depth=3
	s_sleep 1
	global_load_dwordx2 v[11:12], v2, s[16:17] offset:40
	global_load_dwordx2 v[15:16], v2, s[16:17]
	v_mov_b32_e32 v18, v4
	v_mov_b32_e32 v17, v3
	s_waitcnt vmcnt(1)
	v_and_b32_e32 v1, v11, v17
	s_waitcnt vmcnt(0)
	v_mad_u64_u32 v[3:4], s[24:25], v1, 24, v[15:16]
	v_and_b32_e32 v11, v12, v18
	v_mov_b32_e32 v1, v4
	v_mad_u64_u32 v[11:12], s[24:25], v11, 24, v[1:2]
	v_mov_b32_e32 v4, v11
	global_load_dwordx2 v[15:16], v[3:4], off glc
	s_waitcnt vmcnt(0)
	global_atomic_cmpswap_x2 v[3:4], v2, v[15:18], s[16:17] offset:24 glc
	s_waitcnt vmcnt(0)
	buffer_wbinvl1_vol
	v_cmp_eq_u64_e32 vcc, v[3:4], v[17:18]
	s_or_b64 s[22:23], vcc, s[22:23]
	s_andn2_b64 exec, exec, s[22:23]
	s_cbranch_execnz .LBB6_341
; %bb.342:                              ;   in Loop: Header=BB6_6 Depth=2
	s_or_b64 exec, exec, s[22:23]
.LBB6_343:                              ;   in Loop: Header=BB6_6 Depth=2
	s_or_b64 exec, exec, s[20:21]
.LBB6_344:                              ;   in Loop: Header=BB6_6 Depth=2
	s_or_b64 exec, exec, s[18:19]
	global_load_dwordx2 v[11:12], v2, s[16:17] offset:40
	global_load_dwordx4 v[15:18], v2, s[16:17]
	v_readfirstlane_b32 s19, v4
	v_readfirstlane_b32 s18, v3
	s_mov_b64 s[20:21], exec
	s_waitcnt vmcnt(1)
	v_readfirstlane_b32 s22, v11
	v_readfirstlane_b32 s23, v12
	s_and_b64 s[22:23], s[22:23], s[18:19]
	s_mul_i32 s24, s23, 24
	s_mul_hi_u32 s25, s22, 24
	s_mul_i32 s26, s22, 24
	s_add_i32 s24, s25, s24
	v_mov_b32_e32 v1, s24
	s_waitcnt vmcnt(0)
	v_add_co_u32_e32 v3, vcc, s26, v15
	v_addc_co_u32_e32 v4, vcc, v16, v1, vcc
	s_and_saveexec_b64 s[24:25], s[2:3]
	s_cbranch_execz .LBB6_346
; %bb.345:                              ;   in Loop: Header=BB6_6 Depth=2
	v_mov_b32_e32 v11, s20
	v_mov_b32_e32 v12, s21
	global_store_dwordx4 v[3:4], v[11:14], off offset:8
.LBB6_346:                              ;   in Loop: Header=BB6_6 Depth=2
	s_or_b64 exec, exec, s[24:25]
	s_lshl_b64 s[20:21], s[22:23], 12
	v_mov_b32_e32 v1, s21
	v_add_co_u32_e32 v11, vcc, s20, v17
	v_addc_co_u32_e32 v1, vcc, v18, v1, vcc
	v_mov_b32_e32 v20, s7
	v_and_or_b32 v7, v7, s34, 34
	v_readfirstlane_b32 s20, v11
	v_readfirstlane_b32 s21, v1
	v_mov_b32_e32 v19, s6
	v_mov_b32_e32 v18, s5
	;; [unrolled: 1-line block ×3, first 2 shown]
	s_nop 1
	global_store_dwordx4 v38, v[7:10], s[20:21]
	global_store_dwordx4 v38, v[17:20], s[20:21] offset:16
	global_store_dwordx4 v38, v[17:20], s[20:21] offset:32
	;; [unrolled: 1-line block ×3, first 2 shown]
	s_and_saveexec_b64 s[20:21], s[2:3]
	s_cbranch_execz .LBB6_354
; %bb.347:                              ;   in Loop: Header=BB6_6 Depth=2
	global_load_dwordx2 v[19:20], v2, s[16:17] offset:32 glc
	global_load_dwordx2 v[7:8], v2, s[16:17] offset:40
	v_mov_b32_e32 v17, s18
	v_mov_b32_e32 v18, s19
	s_waitcnt vmcnt(0)
	v_readfirstlane_b32 s22, v7
	v_readfirstlane_b32 s23, v8
	s_and_b64 s[22:23], s[22:23], s[18:19]
	s_mul_i32 s23, s23, 24
	s_mul_hi_u32 s24, s22, 24
	s_mul_i32 s22, s22, 24
	s_add_i32 s23, s24, s23
	v_mov_b32_e32 v1, s23
	v_add_co_u32_e32 v7, vcc, s22, v15
	v_addc_co_u32_e32 v8, vcc, v16, v1, vcc
	global_store_dwordx2 v[7:8], v[19:20], off
	s_waitcnt vmcnt(0)
	global_atomic_cmpswap_x2 v[17:18], v2, v[17:20], s[16:17] offset:32 glc
	s_waitcnt vmcnt(0)
	v_cmp_ne_u64_e32 vcc, v[17:18], v[19:20]
	s_and_saveexec_b64 s[22:23], vcc
	s_cbranch_execz .LBB6_350
; %bb.348:                              ;   in Loop: Header=BB6_6 Depth=2
	s_mov_b64 s[24:25], 0
.LBB6_349:                              ;   Parent Loop BB6_3 Depth=1
                                        ;     Parent Loop BB6_6 Depth=2
                                        ; =>    This Inner Loop Header: Depth=3
	s_sleep 1
	global_store_dwordx2 v[7:8], v[17:18], off
	v_mov_b32_e32 v15, s18
	v_mov_b32_e32 v16, s19
	s_waitcnt vmcnt(0)
	global_atomic_cmpswap_x2 v[11:12], v2, v[15:18], s[16:17] offset:32 glc
	s_waitcnt vmcnt(0)
	v_cmp_eq_u64_e32 vcc, v[11:12], v[17:18]
	v_mov_b32_e32 v18, v12
	s_or_b64 s[24:25], vcc, s[24:25]
	v_mov_b32_e32 v17, v11
	s_andn2_b64 exec, exec, s[24:25]
	s_cbranch_execnz .LBB6_349
.LBB6_350:                              ;   in Loop: Header=BB6_6 Depth=2
	s_or_b64 exec, exec, s[22:23]
	global_load_dwordx2 v[7:8], v2, s[16:17] offset:16
	s_mov_b64 s[24:25], exec
	v_mbcnt_lo_u32_b32 v1, s24, 0
	v_mbcnt_hi_u32_b32 v1, s25, v1
	v_cmp_eq_u32_e32 vcc, 0, v1
	s_and_saveexec_b64 s[22:23], vcc
	s_cbranch_execz .LBB6_352
; %bb.351:                              ;   in Loop: Header=BB6_6 Depth=2
	s_bcnt1_i32_b64 s24, s[24:25]
	v_mov_b32_e32 v1, s24
	s_waitcnt vmcnt(0)
	global_atomic_add_x2 v[7:8], v[1:2], off offset:8
.LBB6_352:                              ;   in Loop: Header=BB6_6 Depth=2
	s_or_b64 exec, exec, s[22:23]
	s_waitcnt vmcnt(0)
	global_load_dwordx2 v[11:12], v[7:8], off offset:16
	s_waitcnt vmcnt(0)
	v_cmp_eq_u64_e32 vcc, 0, v[11:12]
	s_cbranch_vccnz .LBB6_354
; %bb.353:                              ;   in Loop: Header=BB6_6 Depth=2
	global_load_dword v1, v[7:8], off offset:24
	s_waitcnt vmcnt(0)
	v_readfirstlane_b32 s22, v1
	s_and_b32 m0, s22, 0xffffff
	global_store_dwordx2 v[11:12], v[1:2], off
	s_sendmsg sendmsg(MSG_INTERRUPT)
.LBB6_354:                              ;   in Loop: Header=BB6_6 Depth=2
	s_or_b64 exec, exec, s[20:21]
	s_branch .LBB6_358
.LBB6_355:                              ;   in Loop: Header=BB6_358 Depth=3
	s_or_b64 exec, exec, s[20:21]
	v_readfirstlane_b32 s20, v1
	s_cmp_eq_u32 s20, 0
	s_cbranch_scc1 .LBB6_357
; %bb.356:                              ;   in Loop: Header=BB6_358 Depth=3
	s_sleep 1
	s_cbranch_execnz .LBB6_358
	s_branch .LBB6_360
.LBB6_357:                              ;   in Loop: Header=BB6_6 Depth=2
	s_branch .LBB6_360
.LBB6_358:                              ;   Parent Loop BB6_3 Depth=1
                                        ;     Parent Loop BB6_6 Depth=2
                                        ; =>    This Inner Loop Header: Depth=3
	v_mov_b32_e32 v1, 1
	s_and_saveexec_b64 s[20:21], s[2:3]
	s_cbranch_execz .LBB6_355
; %bb.359:                              ;   in Loop: Header=BB6_358 Depth=3
	global_load_dword v1, v[3:4], off offset:20 glc
	s_waitcnt vmcnt(0)
	buffer_wbinvl1_vol
	v_and_b32_e32 v1, 1, v1
	s_branch .LBB6_355
.LBB6_360:                              ;   in Loop: Header=BB6_6 Depth=2
	s_and_saveexec_b64 s[20:21], s[2:3]
	s_cbranch_execz .LBB6_5
; %bb.361:                              ;   in Loop: Header=BB6_6 Depth=2
	global_load_dwordx2 v[3:4], v2, s[16:17] offset:40
	global_load_dwordx2 v[19:20], v2, s[16:17] offset:24 glc
	global_load_dwordx2 v[7:8], v2, s[16:17]
	s_waitcnt vmcnt(2)
	v_readfirstlane_b32 s22, v3
	v_readfirstlane_b32 s23, v4
	s_add_u32 s24, s22, 1
	s_addc_u32 s25, s23, 0
	s_add_u32 s2, s24, s18
	s_addc_u32 s3, s25, s19
	s_cmp_eq_u64 s[2:3], 0
	s_cselect_b32 s3, s25, s3
	s_cselect_b32 s2, s24, s2
	s_and_b64 s[18:19], s[2:3], s[22:23]
	s_mul_i32 s19, s19, 24
	s_mul_hi_u32 s22, s18, 24
	s_mul_i32 s18, s18, 24
	s_add_i32 s19, s22, s19
	v_mov_b32_e32 v1, s19
	s_waitcnt vmcnt(0)
	v_add_co_u32_e32 v3, vcc, s18, v7
	v_addc_co_u32_e32 v4, vcc, v8, v1, vcc
	v_mov_b32_e32 v17, s2
	global_store_dwordx2 v[3:4], v[19:20], off
	v_mov_b32_e32 v18, s3
	s_waitcnt vmcnt(0)
	global_atomic_cmpswap_x2 v[17:18], v2, v[17:20], s[16:17] offset:24 glc
	s_waitcnt vmcnt(0)
	v_cmp_ne_u64_e32 vcc, v[17:18], v[19:20]
	s_and_b64 exec, exec, vcc
	s_cbranch_execz .LBB6_5
; %bb.362:                              ;   in Loop: Header=BB6_6 Depth=2
	s_mov_b64 s[18:19], 0
.LBB6_363:                              ;   Parent Loop BB6_3 Depth=1
                                        ;     Parent Loop BB6_6 Depth=2
                                        ; =>    This Inner Loop Header: Depth=3
	s_sleep 1
	global_store_dwordx2 v[3:4], v[17:18], off
	v_mov_b32_e32 v15, s2
	v_mov_b32_e32 v16, s3
	s_waitcnt vmcnt(0)
	global_atomic_cmpswap_x2 v[7:8], v2, v[15:18], s[16:17] offset:24 glc
	s_waitcnt vmcnt(0)
	v_cmp_eq_u64_e32 vcc, v[7:8], v[17:18]
	v_mov_b32_e32 v18, v8
	s_or_b64 s[18:19], vcc, s[18:19]
	v_mov_b32_e32 v17, v7
	s_andn2_b64 exec, exec, s[18:19]
	s_cbranch_execnz .LBB6_363
	s_branch .LBB6_5
.LBB6_364:
	s_endpgm
	.section	.rodata,"a",@progbits
	.p2align	6, 0x0
	.amdhsa_kernel _ZN19hipPrintfStressTest26kernel_decimal_calculationEji
		.amdhsa_group_segment_fixed_size 0
		.amdhsa_private_segment_fixed_size 0
		.amdhsa_kernarg_size 264
		.amdhsa_user_sgpr_count 6
		.amdhsa_user_sgpr_private_segment_buffer 1
		.amdhsa_user_sgpr_dispatch_ptr 0
		.amdhsa_user_sgpr_queue_ptr 0
		.amdhsa_user_sgpr_kernarg_segment_ptr 1
		.amdhsa_user_sgpr_dispatch_id 0
		.amdhsa_user_sgpr_flat_scratch_init 0
		.amdhsa_user_sgpr_private_segment_size 0
		.amdhsa_uses_dynamic_stack 0
		.amdhsa_system_sgpr_private_segment_wavefront_offset 0
		.amdhsa_system_sgpr_workgroup_id_x 1
		.amdhsa_system_sgpr_workgroup_id_y 0
		.amdhsa_system_sgpr_workgroup_id_z 0
		.amdhsa_system_sgpr_workgroup_info 0
		.amdhsa_system_vgpr_workitem_id 0
		.amdhsa_next_free_vgpr 39
		.amdhsa_next_free_sgpr 38
		.amdhsa_reserve_vcc 1
		.amdhsa_reserve_flat_scratch 0
		.amdhsa_float_round_mode_32 0
		.amdhsa_float_round_mode_16_64 0
		.amdhsa_float_denorm_mode_32 3
		.amdhsa_float_denorm_mode_16_64 3
		.amdhsa_dx10_clamp 1
		.amdhsa_ieee_mode 1
		.amdhsa_fp16_overflow 0
		.amdhsa_exception_fp_ieee_invalid_op 0
		.amdhsa_exception_fp_denorm_src 0
		.amdhsa_exception_fp_ieee_div_zero 0
		.amdhsa_exception_fp_ieee_overflow 0
		.amdhsa_exception_fp_ieee_underflow 0
		.amdhsa_exception_fp_ieee_inexact 0
		.amdhsa_exception_int_div_zero 0
	.end_amdhsa_kernel
	.text
.Lfunc_end6:
	.size	_ZN19hipPrintfStressTest26kernel_decimal_calculationEji, .Lfunc_end6-_ZN19hipPrintfStressTest26kernel_decimal_calculationEji
                                        ; -- End function
	.set _ZN19hipPrintfStressTest26kernel_decimal_calculationEji.num_vgpr, 39
	.set _ZN19hipPrintfStressTest26kernel_decimal_calculationEji.num_agpr, 0
	.set _ZN19hipPrintfStressTest26kernel_decimal_calculationEji.numbered_sgpr, 38
	.set _ZN19hipPrintfStressTest26kernel_decimal_calculationEji.num_named_barrier, 0
	.set _ZN19hipPrintfStressTest26kernel_decimal_calculationEji.private_seg_size, 0
	.set _ZN19hipPrintfStressTest26kernel_decimal_calculationEji.uses_vcc, 1
	.set _ZN19hipPrintfStressTest26kernel_decimal_calculationEji.uses_flat_scratch, 0
	.set _ZN19hipPrintfStressTest26kernel_decimal_calculationEji.has_dyn_sized_stack, 0
	.set _ZN19hipPrintfStressTest26kernel_decimal_calculationEji.has_recursion, 0
	.set _ZN19hipPrintfStressTest26kernel_decimal_calculationEji.has_indirect_call, 0
	.section	.AMDGPU.csdata,"",@progbits
; Kernel info:
; codeLenInByte = 12548
; TotalNumSgprs: 42
; NumVgprs: 39
; ScratchSize: 0
; MemoryBound: 0
; FloatMode: 240
; IeeeMode: 1
; LDSByteSize: 0 bytes/workgroup (compile time only)
; SGPRBlocks: 5
; VGPRBlocks: 9
; NumSGPRsForWavesPerEU: 42
; NumVGPRsForWavesPerEU: 39
; Occupancy: 6
; WaveLimiterHint : 1
; COMPUTE_PGM_RSRC2:SCRATCH_EN: 0
; COMPUTE_PGM_RSRC2:USER_SGPR: 6
; COMPUTE_PGM_RSRC2:TRAP_HANDLER: 0
; COMPUTE_PGM_RSRC2:TGID_X_EN: 1
; COMPUTE_PGM_RSRC2:TGID_Y_EN: 0
; COMPUTE_PGM_RSRC2:TGID_Z_EN: 0
; COMPUTE_PGM_RSRC2:TIDIG_COMP_CNT: 0
	.text
	.protected	_ZN19hipPrintfStressTest17kernel_shared_memEv ; -- Begin function _ZN19hipPrintfStressTest17kernel_shared_memEv
	.globl	_ZN19hipPrintfStressTest17kernel_shared_memEv
	.p2align	8
	.type	_ZN19hipPrintfStressTest17kernel_shared_memEv,@function
_ZN19hipPrintfStressTest17kernel_shared_memEv: ; @_ZN19hipPrintfStressTest17kernel_shared_memEv
; %bb.0:
	s_mov_b64 s[0:1], exec
	v_mov_b32_e32 v1, 0
	s_mov_b32 s2, 0
	ds_write_b32 v1, v1
	s_waitcnt lgkmcnt(0)
	s_barrier
.LBB7_1:                                ; =>This Inner Loop Header: Depth=1
	s_ff1_i32_b64 s3, s[0:1]
	v_readlane_b32 s8, v0, s3
	s_lshl_b64 s[6:7], 1, s3
	s_add_i32 s2, s2, s8
	s_andn2_b64 s[0:1], s[0:1], s[6:7]
	s_cmp_lg_u64 s[0:1], 0
	s_cbranch_scc1 .LBB7_1
; %bb.2:
	v_mbcnt_lo_u32_b32 v0, exec_lo, 0
	v_mbcnt_hi_u32_b32 v0, exec_hi, v0
	v_cmp_eq_u32_e32 vcc, 0, v0
	s_and_saveexec_b64 s[0:1], vcc
	s_xor_b64 s[0:1], exec, s[0:1]
; %bb.3:
	v_mov_b32_e32 v0, 0
	v_mov_b32_e32 v1, s2
	ds_add_u32 v0, v1
; %bb.4:
	s_or_b64 exec, exec, s[0:1]
	v_mov_b32_e32 v6, 0
	s_waitcnt lgkmcnt(0)
	s_barrier
	ds_read_b32 v29, v6
	s_load_dwordx2 s[2:3], s[4:5], 0x50
	v_mbcnt_lo_u32_b32 v0, -1, 0
	v_mbcnt_hi_u32_b32 v31, -1, v0
	v_readfirstlane_b32 s0, v31
	v_mov_b32_e32 v4, 0
	v_mov_b32_e32 v5, 0
	v_cmp_eq_u32_e64 s[0:1], s0, v31
	s_and_saveexec_b64 s[4:5], s[0:1]
	s_cbranch_execz .LBB7_10
; %bb.5:
	s_waitcnt lgkmcnt(0)
	global_load_dwordx2 v[2:3], v6, s[2:3] offset:24 glc
	s_waitcnt vmcnt(0)
	buffer_wbinvl1_vol
	global_load_dwordx2 v[0:1], v6, s[2:3] offset:40
	global_load_dwordx2 v[4:5], v6, s[2:3]
	s_waitcnt vmcnt(1)
	v_and_b32_e32 v0, v0, v2
	v_and_b32_e32 v1, v1, v3
	v_mul_lo_u32 v1, v1, 24
	v_mul_hi_u32 v7, v0, 24
	v_mul_lo_u32 v0, v0, 24
	v_add_u32_e32 v1, v7, v1
	s_waitcnt vmcnt(0)
	v_add_co_u32_e32 v0, vcc, v4, v0
	v_addc_co_u32_e32 v1, vcc, v5, v1, vcc
	global_load_dwordx2 v[0:1], v[0:1], off glc
	s_waitcnt vmcnt(0)
	global_atomic_cmpswap_x2 v[4:5], v6, v[0:3], s[2:3] offset:24 glc
	s_waitcnt vmcnt(0)
	buffer_wbinvl1_vol
	v_cmp_ne_u64_e32 vcc, v[4:5], v[2:3]
	s_and_saveexec_b64 s[6:7], vcc
	s_cbranch_execz .LBB7_9
; %bb.6:
	s_mov_b64 s[8:9], 0
	v_mov_b32_e32 v0, 0
.LBB7_7:                                ; =>This Inner Loop Header: Depth=1
	s_sleep 1
	global_load_dwordx2 v[1:2], v0, s[2:3] offset:40
	global_load_dwordx2 v[7:8], v0, s[2:3]
	v_mov_b32_e32 v10, v5
	v_mov_b32_e32 v9, v4
	s_waitcnt vmcnt(1)
	v_and_b32_e32 v1, v1, v9
	s_waitcnt vmcnt(0)
	v_mad_u64_u32 v[3:4], s[10:11], v1, 24, v[7:8]
	v_and_b32_e32 v2, v2, v10
	v_mov_b32_e32 v1, v4
	v_mad_u64_u32 v[1:2], s[10:11], v2, 24, v[1:2]
	v_mov_b32_e32 v4, v1
	global_load_dwordx2 v[7:8], v[3:4], off glc
	s_waitcnt vmcnt(0)
	global_atomic_cmpswap_x2 v[4:5], v0, v[7:10], s[2:3] offset:24 glc
	s_waitcnt vmcnt(0)
	buffer_wbinvl1_vol
	v_cmp_eq_u64_e32 vcc, v[4:5], v[9:10]
	s_or_b64 s[8:9], vcc, s[8:9]
	s_andn2_b64 exec, exec, s[8:9]
	s_cbranch_execnz .LBB7_7
; %bb.8:
	s_or_b64 exec, exec, s[8:9]
.LBB7_9:
	s_or_b64 exec, exec, s[6:7]
.LBB7_10:
	s_or_b64 exec, exec, s[4:5]
	s_waitcnt lgkmcnt(0)
	global_load_dwordx2 v[7:8], v6, s[2:3] offset:40
	global_load_dwordx4 v[0:3], v6, s[2:3]
	v_readfirstlane_b32 s5, v5
	v_readfirstlane_b32 s4, v4
	s_mov_b64 s[6:7], exec
	s_waitcnt vmcnt(1)
	v_readfirstlane_b32 s8, v7
	v_readfirstlane_b32 s9, v8
	s_and_b64 s[8:9], s[8:9], s[4:5]
	s_mul_i32 s10, s9, 24
	s_mul_hi_u32 s11, s8, 24
	s_mul_i32 s12, s8, 24
	s_add_i32 s10, s11, s10
	v_mov_b32_e32 v4, s10
	s_waitcnt vmcnt(0)
	v_add_co_u32_e32 v6, vcc, s12, v0
	v_addc_co_u32_e32 v7, vcc, v1, v4, vcc
	s_and_saveexec_b64 s[10:11], s[0:1]
	s_cbranch_execz .LBB7_12
; %bb.11:
	v_mov_b32_e32 v9, s7
	v_mov_b32_e32 v8, s6
	;; [unrolled: 1-line block ×4, first 2 shown]
	global_store_dwordx4 v[6:7], v[8:11], off offset:8
.LBB7_12:
	s_or_b64 exec, exec, s[10:11]
	s_lshl_b64 s[6:7], s[8:9], 12
	v_mov_b32_e32 v4, s7
	v_add_co_u32_e32 v10, vcc, s6, v2
	v_addc_co_u32_e32 v11, vcc, v3, v4, vcc
	v_lshlrev_b32_e32 v30, 6, v31
	s_mov_b32 s8, 0
	v_add_co_u32_e32 v8, vcc, v10, v30
	s_mov_b32 s11, s8
	v_mov_b32_e32 v3, 0
	v_addc_co_u32_e32 v9, vcc, 0, v11, vcc
	v_readfirstlane_b32 s6, v10
	v_readfirstlane_b32 s7, v11
	s_mov_b32 s9, s8
	s_mov_b32 s10, s8
	v_mov_b32_e32 v13, s11
	v_mov_b32_e32 v2, 33
	;; [unrolled: 1-line block ×7, first 2 shown]
	global_store_dwordx4 v30, v[2:5], s[6:7]
	global_store_dwordx4 v30, v[10:13], s[6:7] offset:16
	global_store_dwordx4 v30, v[10:13], s[6:7] offset:32
	;; [unrolled: 1-line block ×3, first 2 shown]
	s_and_saveexec_b64 s[6:7], s[0:1]
	s_cbranch_execz .LBB7_20
; %bb.13:
	global_load_dwordx2 v[12:13], v3, s[2:3] offset:32 glc
	global_load_dwordx2 v[4:5], v3, s[2:3] offset:40
	v_mov_b32_e32 v10, s4
	v_mov_b32_e32 v11, s5
	s_waitcnt vmcnt(0)
	v_and_b32_e32 v2, s4, v4
	v_and_b32_e32 v4, s5, v5
	v_mul_lo_u32 v4, v4, 24
	v_mul_hi_u32 v5, v2, 24
	v_mul_lo_u32 v2, v2, 24
	v_add_u32_e32 v5, v5, v4
	v_add_co_u32_e32 v4, vcc, v0, v2
	v_addc_co_u32_e32 v5, vcc, v1, v5, vcc
	global_store_dwordx2 v[4:5], v[12:13], off
	s_waitcnt vmcnt(0)
	global_atomic_cmpswap_x2 v[2:3], v3, v[10:13], s[2:3] offset:32 glc
	s_waitcnt vmcnt(0)
	v_cmp_ne_u64_e32 vcc, v[2:3], v[12:13]
	s_and_saveexec_b64 s[8:9], vcc
	s_cbranch_execz .LBB7_16
; %bb.14:
	s_mov_b64 s[10:11], 0
	v_mov_b32_e32 v10, 0
.LBB7_15:                               ; =>This Inner Loop Header: Depth=1
	s_sleep 1
	global_store_dwordx2 v[4:5], v[2:3], off
	v_mov_b32_e32 v0, s4
	v_mov_b32_e32 v1, s5
	s_waitcnt vmcnt(0)
	global_atomic_cmpswap_x2 v[0:1], v10, v[0:3], s[2:3] offset:32 glc
	s_waitcnt vmcnt(0)
	v_cmp_eq_u64_e32 vcc, v[0:1], v[2:3]
	v_mov_b32_e32 v3, v1
	s_or_b64 s[10:11], vcc, s[10:11]
	v_mov_b32_e32 v2, v0
	s_andn2_b64 exec, exec, s[10:11]
	s_cbranch_execnz .LBB7_15
.LBB7_16:
	s_or_b64 exec, exec, s[8:9]
	v_mov_b32_e32 v3, 0
	global_load_dwordx2 v[0:1], v3, s[2:3] offset:16
	s_mov_b64 s[8:9], exec
	v_mbcnt_lo_u32_b32 v2, s8, 0
	v_mbcnt_hi_u32_b32 v2, s9, v2
	v_cmp_eq_u32_e32 vcc, 0, v2
	s_and_saveexec_b64 s[10:11], vcc
	s_cbranch_execz .LBB7_18
; %bb.17:
	s_bcnt1_i32_b64 s8, s[8:9]
	v_mov_b32_e32 v2, s8
	s_waitcnt vmcnt(0)
	global_atomic_add_x2 v[0:1], v[2:3], off offset:8
.LBB7_18:
	s_or_b64 exec, exec, s[10:11]
	s_waitcnt vmcnt(0)
	global_load_dwordx2 v[2:3], v[0:1], off offset:16
	s_waitcnt vmcnt(0)
	v_cmp_eq_u64_e32 vcc, 0, v[2:3]
	s_cbranch_vccnz .LBB7_20
; %bb.19:
	global_load_dword v0, v[0:1], off offset:24
	v_mov_b32_e32 v1, 0
	s_waitcnt vmcnt(0)
	v_readfirstlane_b32 s8, v0
	s_and_b32 m0, s8, 0xffffff
	global_store_dwordx2 v[2:3], v[0:1], off
	s_sendmsg sendmsg(MSG_INTERRUPT)
.LBB7_20:
	s_or_b64 exec, exec, s[6:7]
	s_branch .LBB7_24
.LBB7_21:                               ;   in Loop: Header=BB7_24 Depth=1
	s_or_b64 exec, exec, s[6:7]
	v_readfirstlane_b32 s6, v0
	s_cmp_eq_u32 s6, 0
	s_cbranch_scc1 .LBB7_23
; %bb.22:                               ;   in Loop: Header=BB7_24 Depth=1
	s_sleep 1
	s_cbranch_execnz .LBB7_24
	s_branch .LBB7_26
.LBB7_23:
	s_branch .LBB7_26
.LBB7_24:                               ; =>This Inner Loop Header: Depth=1
	v_mov_b32_e32 v0, 1
	s_and_saveexec_b64 s[6:7], s[0:1]
	s_cbranch_execz .LBB7_21
; %bb.25:                               ;   in Loop: Header=BB7_24 Depth=1
	global_load_dword v0, v[6:7], off offset:20 glc
	s_waitcnt vmcnt(0)
	buffer_wbinvl1_vol
	v_and_b32_e32 v0, 1, v0
	s_branch .LBB7_21
.LBB7_26:
	global_load_dwordx2 v[4:5], v[8:9], off
	s_and_saveexec_b64 s[6:7], s[0:1]
	s_cbranch_execz .LBB7_29
; %bb.27:
	v_mov_b32_e32 v8, 0
	global_load_dwordx2 v[0:1], v8, s[2:3] offset:40
	global_load_dwordx2 v[11:12], v8, s[2:3] offset:24 glc
	global_load_dwordx2 v[2:3], v8, s[2:3]
	s_waitcnt vmcnt(2)
	v_readfirstlane_b32 s8, v0
	v_readfirstlane_b32 s9, v1
	s_add_u32 s10, s8, 1
	s_addc_u32 s11, s9, 0
	s_add_u32 s0, s10, s4
	s_addc_u32 s1, s11, s5
	s_cmp_eq_u64 s[0:1], 0
	s_cselect_b32 s1, s11, s1
	s_cselect_b32 s0, s10, s0
	s_and_b64 s[4:5], s[0:1], s[8:9]
	s_mul_i32 s5, s5, 24
	s_mul_hi_u32 s8, s4, 24
	s_mul_i32 s4, s4, 24
	s_add_i32 s5, s8, s5
	v_mov_b32_e32 v0, s5
	s_waitcnt vmcnt(0)
	v_add_co_u32_e32 v6, vcc, s4, v2
	v_addc_co_u32_e32 v7, vcc, v3, v0, vcc
	v_mov_b32_e32 v9, s0
	global_store_dwordx2 v[6:7], v[11:12], off
	v_mov_b32_e32 v10, s1
	s_waitcnt vmcnt(0)
	global_atomic_cmpswap_x2 v[2:3], v8, v[9:12], s[2:3] offset:24 glc
	s_mov_b64 s[4:5], 0
	s_waitcnt vmcnt(0)
	v_cmp_ne_u64_e32 vcc, v[2:3], v[11:12]
	s_and_b64 exec, exec, vcc
	s_cbranch_execz .LBB7_29
.LBB7_28:                               ; =>This Inner Loop Header: Depth=1
	s_sleep 1
	global_store_dwordx2 v[6:7], v[2:3], off
	v_mov_b32_e32 v0, s0
	v_mov_b32_e32 v1, s1
	s_waitcnt vmcnt(0)
	global_atomic_cmpswap_x2 v[0:1], v8, v[0:3], s[2:3] offset:24 glc
	s_waitcnt vmcnt(0)
	v_cmp_eq_u64_e32 vcc, v[0:1], v[2:3]
	v_mov_b32_e32 v3, v1
	s_or_b64 s[4:5], vcc, s[4:5]
	v_mov_b32_e32 v2, v0
	s_andn2_b64 exec, exec, s[4:5]
	s_cbranch_execnz .LBB7_28
.LBB7_29:
	s_or_b64 exec, exec, s[6:7]
	s_getpc_b64 s[4:5]
	s_add_u32 s4, s4, .str.7@rel32@lo+4
	s_addc_u32 s5, s5, .str.7@rel32@hi+12
	s_cmp_lg_u64 s[4:5], 0
	s_cbranch_scc0 .LBB7_115
; %bb.30:
	v_mov_b32_e32 v26, 0
	s_waitcnt vmcnt(0)
	v_and_b32_e32 v0, -3, v4
	v_mov_b32_e32 v1, v5
	s_mov_b64 s[6:7], 6
	v_mov_b32_e32 v8, 2
	v_mov_b32_e32 v9, 1
	s_branch .LBB7_32
.LBB7_31:                               ;   in Loop: Header=BB7_32 Depth=1
	s_or_b64 exec, exec, s[12:13]
	s_sub_u32 s6, s6, s8
	s_subb_u32 s7, s7, s9
	s_add_u32 s4, s4, s8
	s_addc_u32 s5, s5, s9
	s_cmp_lg_u64 s[6:7], 0
	s_cbranch_scc0 .LBB7_114
.LBB7_32:                               ; =>This Loop Header: Depth=1
                                        ;     Child Loop BB7_35 Depth 2
                                        ;     Child Loop BB7_43 Depth 2
	;; [unrolled: 1-line block ×11, first 2 shown]
	v_cmp_lt_u64_e64 s[0:1], s[6:7], 56
	v_cmp_gt_u64_e64 s[10:11], s[6:7], 7
	s_and_b64 s[0:1], s[0:1], exec
	s_cselect_b32 s9, s7, 0
	s_cselect_b32 s8, s6, 56
	s_add_u32 s0, s4, 8
	s_addc_u32 s1, s5, 0
	s_and_b64 vcc, exec, s[10:11]
	s_cbranch_vccnz .LBB7_36
; %bb.33:                               ;   in Loop: Header=BB7_32 Depth=1
	s_cmp_eq_u64 s[6:7], 0
	s_cbranch_scc1 .LBB7_37
; %bb.34:                               ;   in Loop: Header=BB7_32 Depth=1
	v_mov_b32_e32 v2, 0
	s_lshl_b64 s[0:1], s[8:9], 3
	s_mov_b64 s[10:11], 0
	v_mov_b32_e32 v3, 0
	s_mov_b64 s[12:13], s[4:5]
.LBB7_35:                               ;   Parent Loop BB7_32 Depth=1
                                        ; =>  This Inner Loop Header: Depth=2
	global_load_ubyte v6, v26, s[12:13]
	s_waitcnt vmcnt(0)
	v_and_b32_e32 v25, 0xffff, v6
	v_lshlrev_b64 v[6:7], s10, v[25:26]
	s_add_u32 s10, s10, 8
	s_addc_u32 s11, s11, 0
	s_add_u32 s12, s12, 1
	s_addc_u32 s13, s13, 0
	v_or_b32_e32 v2, v6, v2
	s_cmp_lg_u32 s0, s10
	v_or_b32_e32 v3, v7, v3
	s_cbranch_scc1 .LBB7_35
	s_branch .LBB7_38
.LBB7_36:                               ;   in Loop: Header=BB7_32 Depth=1
	s_mov_b32 s14, 0
	s_branch .LBB7_39
.LBB7_37:                               ;   in Loop: Header=BB7_32 Depth=1
	v_mov_b32_e32 v2, 0
	v_mov_b32_e32 v3, 0
.LBB7_38:                               ;   in Loop: Header=BB7_32 Depth=1
	s_mov_b64 s[0:1], s[4:5]
	s_mov_b32 s14, 0
	s_cbranch_execnz .LBB7_40
.LBB7_39:                               ;   in Loop: Header=BB7_32 Depth=1
	global_load_dwordx2 v[2:3], v26, s[4:5]
	s_add_i32 s14, s8, -8
.LBB7_40:                               ;   in Loop: Header=BB7_32 Depth=1
	s_add_u32 s10, s0, 8
	s_addc_u32 s11, s1, 0
	s_cmp_gt_u32 s14, 7
	s_cbranch_scc1 .LBB7_44
; %bb.41:                               ;   in Loop: Header=BB7_32 Depth=1
	s_cmp_eq_u32 s14, 0
	s_cbranch_scc1 .LBB7_45
; %bb.42:                               ;   in Loop: Header=BB7_32 Depth=1
	v_mov_b32_e32 v10, 0
	s_mov_b64 s[10:11], 0
	v_mov_b32_e32 v11, 0
	s_mov_b64 s[12:13], 0
.LBB7_43:                               ;   Parent Loop BB7_32 Depth=1
                                        ; =>  This Inner Loop Header: Depth=2
	s_add_u32 s16, s0, s12
	s_addc_u32 s17, s1, s13
	global_load_ubyte v6, v26, s[16:17]
	s_add_u32 s12, s12, 1
	s_addc_u32 s13, s13, 0
	s_waitcnt vmcnt(0)
	v_and_b32_e32 v25, 0xffff, v6
	v_lshlrev_b64 v[6:7], s10, v[25:26]
	s_add_u32 s10, s10, 8
	s_addc_u32 s11, s11, 0
	v_or_b32_e32 v10, v6, v10
	s_cmp_lg_u32 s14, s12
	v_or_b32_e32 v11, v7, v11
	s_cbranch_scc1 .LBB7_43
	s_branch .LBB7_46
.LBB7_44:                               ;   in Loop: Header=BB7_32 Depth=1
                                        ; implicit-def: $vgpr10_vgpr11
	s_mov_b32 s15, 0
	s_branch .LBB7_47
.LBB7_45:                               ;   in Loop: Header=BB7_32 Depth=1
	v_mov_b32_e32 v10, 0
	v_mov_b32_e32 v11, 0
.LBB7_46:                               ;   in Loop: Header=BB7_32 Depth=1
	s_mov_b64 s[10:11], s[0:1]
	s_mov_b32 s15, 0
	s_cbranch_execnz .LBB7_48
.LBB7_47:                               ;   in Loop: Header=BB7_32 Depth=1
	global_load_dwordx2 v[10:11], v26, s[0:1]
	s_add_i32 s15, s14, -8
.LBB7_48:                               ;   in Loop: Header=BB7_32 Depth=1
	s_add_u32 s0, s10, 8
	s_addc_u32 s1, s11, 0
	s_cmp_gt_u32 s15, 7
	s_cbranch_scc1 .LBB7_52
; %bb.49:                               ;   in Loop: Header=BB7_32 Depth=1
	s_cmp_eq_u32 s15, 0
	s_cbranch_scc1 .LBB7_53
; %bb.50:                               ;   in Loop: Header=BB7_32 Depth=1
	v_mov_b32_e32 v12, 0
	s_mov_b64 s[0:1], 0
	v_mov_b32_e32 v13, 0
	s_mov_b64 s[12:13], 0
.LBB7_51:                               ;   Parent Loop BB7_32 Depth=1
                                        ; =>  This Inner Loop Header: Depth=2
	s_add_u32 s16, s10, s12
	s_addc_u32 s17, s11, s13
	global_load_ubyte v6, v26, s[16:17]
	s_add_u32 s12, s12, 1
	s_addc_u32 s13, s13, 0
	s_waitcnt vmcnt(0)
	v_and_b32_e32 v25, 0xffff, v6
	v_lshlrev_b64 v[6:7], s0, v[25:26]
	s_add_u32 s0, s0, 8
	s_addc_u32 s1, s1, 0
	v_or_b32_e32 v12, v6, v12
	s_cmp_lg_u32 s15, s12
	v_or_b32_e32 v13, v7, v13
	s_cbranch_scc1 .LBB7_51
	s_branch .LBB7_54
.LBB7_52:                               ;   in Loop: Header=BB7_32 Depth=1
	s_mov_b32 s14, 0
	s_branch .LBB7_55
.LBB7_53:                               ;   in Loop: Header=BB7_32 Depth=1
	v_mov_b32_e32 v12, 0
	v_mov_b32_e32 v13, 0
.LBB7_54:                               ;   in Loop: Header=BB7_32 Depth=1
	s_mov_b64 s[0:1], s[10:11]
	s_mov_b32 s14, 0
	s_cbranch_execnz .LBB7_56
.LBB7_55:                               ;   in Loop: Header=BB7_32 Depth=1
	global_load_dwordx2 v[12:13], v26, s[10:11]
	s_add_i32 s14, s15, -8
.LBB7_56:                               ;   in Loop: Header=BB7_32 Depth=1
	s_add_u32 s10, s0, 8
	s_addc_u32 s11, s1, 0
	s_cmp_gt_u32 s14, 7
	s_cbranch_scc1 .LBB7_60
; %bb.57:                               ;   in Loop: Header=BB7_32 Depth=1
	s_cmp_eq_u32 s14, 0
	s_cbranch_scc1 .LBB7_61
; %bb.58:                               ;   in Loop: Header=BB7_32 Depth=1
	v_mov_b32_e32 v14, 0
	s_mov_b64 s[10:11], 0
	v_mov_b32_e32 v15, 0
	s_mov_b64 s[12:13], 0
.LBB7_59:                               ;   Parent Loop BB7_32 Depth=1
                                        ; =>  This Inner Loop Header: Depth=2
	s_add_u32 s16, s0, s12
	s_addc_u32 s17, s1, s13
	global_load_ubyte v6, v26, s[16:17]
	s_add_u32 s12, s12, 1
	s_addc_u32 s13, s13, 0
	s_waitcnt vmcnt(0)
	v_and_b32_e32 v25, 0xffff, v6
	v_lshlrev_b64 v[6:7], s10, v[25:26]
	s_add_u32 s10, s10, 8
	s_addc_u32 s11, s11, 0
	v_or_b32_e32 v14, v6, v14
	s_cmp_lg_u32 s14, s12
	v_or_b32_e32 v15, v7, v15
	s_cbranch_scc1 .LBB7_59
	s_branch .LBB7_62
.LBB7_60:                               ;   in Loop: Header=BB7_32 Depth=1
                                        ; implicit-def: $vgpr14_vgpr15
	s_mov_b32 s15, 0
	s_branch .LBB7_63
.LBB7_61:                               ;   in Loop: Header=BB7_32 Depth=1
	v_mov_b32_e32 v14, 0
	v_mov_b32_e32 v15, 0
.LBB7_62:                               ;   in Loop: Header=BB7_32 Depth=1
	s_mov_b64 s[10:11], s[0:1]
	s_mov_b32 s15, 0
	s_cbranch_execnz .LBB7_64
.LBB7_63:                               ;   in Loop: Header=BB7_32 Depth=1
	global_load_dwordx2 v[14:15], v26, s[0:1]
	s_add_i32 s15, s14, -8
.LBB7_64:                               ;   in Loop: Header=BB7_32 Depth=1
	s_add_u32 s0, s10, 8
	s_addc_u32 s1, s11, 0
	s_cmp_gt_u32 s15, 7
	s_cbranch_scc1 .LBB7_68
; %bb.65:                               ;   in Loop: Header=BB7_32 Depth=1
	s_cmp_eq_u32 s15, 0
	s_cbranch_scc1 .LBB7_69
; %bb.66:                               ;   in Loop: Header=BB7_32 Depth=1
	v_mov_b32_e32 v16, 0
	s_mov_b64 s[0:1], 0
	v_mov_b32_e32 v17, 0
	s_mov_b64 s[12:13], 0
.LBB7_67:                               ;   Parent Loop BB7_32 Depth=1
                                        ; =>  This Inner Loop Header: Depth=2
	s_add_u32 s16, s10, s12
	s_addc_u32 s17, s11, s13
	global_load_ubyte v6, v26, s[16:17]
	s_add_u32 s12, s12, 1
	s_addc_u32 s13, s13, 0
	s_waitcnt vmcnt(0)
	v_and_b32_e32 v25, 0xffff, v6
	v_lshlrev_b64 v[6:7], s0, v[25:26]
	s_add_u32 s0, s0, 8
	s_addc_u32 s1, s1, 0
	v_or_b32_e32 v16, v6, v16
	s_cmp_lg_u32 s15, s12
	v_or_b32_e32 v17, v7, v17
	s_cbranch_scc1 .LBB7_67
	s_branch .LBB7_70
.LBB7_68:                               ;   in Loop: Header=BB7_32 Depth=1
	s_mov_b32 s14, 0
	s_branch .LBB7_71
.LBB7_69:                               ;   in Loop: Header=BB7_32 Depth=1
	v_mov_b32_e32 v16, 0
	v_mov_b32_e32 v17, 0
.LBB7_70:                               ;   in Loop: Header=BB7_32 Depth=1
	s_mov_b64 s[0:1], s[10:11]
	s_mov_b32 s14, 0
	s_cbranch_execnz .LBB7_72
.LBB7_71:                               ;   in Loop: Header=BB7_32 Depth=1
	global_load_dwordx2 v[16:17], v26, s[10:11]
	s_add_i32 s14, s15, -8
.LBB7_72:                               ;   in Loop: Header=BB7_32 Depth=1
	s_add_u32 s10, s0, 8
	s_addc_u32 s11, s1, 0
	s_cmp_gt_u32 s14, 7
	s_cbranch_scc1 .LBB7_76
; %bb.73:                               ;   in Loop: Header=BB7_32 Depth=1
	s_cmp_eq_u32 s14, 0
	s_cbranch_scc1 .LBB7_77
; %bb.74:                               ;   in Loop: Header=BB7_32 Depth=1
	v_mov_b32_e32 v18, 0
	s_mov_b64 s[10:11], 0
	v_mov_b32_e32 v19, 0
	s_mov_b64 s[12:13], 0
.LBB7_75:                               ;   Parent Loop BB7_32 Depth=1
                                        ; =>  This Inner Loop Header: Depth=2
	s_add_u32 s16, s0, s12
	s_addc_u32 s17, s1, s13
	global_load_ubyte v6, v26, s[16:17]
	s_add_u32 s12, s12, 1
	s_addc_u32 s13, s13, 0
	s_waitcnt vmcnt(0)
	v_and_b32_e32 v25, 0xffff, v6
	v_lshlrev_b64 v[6:7], s10, v[25:26]
	s_add_u32 s10, s10, 8
	s_addc_u32 s11, s11, 0
	v_or_b32_e32 v18, v6, v18
	s_cmp_lg_u32 s14, s12
	v_or_b32_e32 v19, v7, v19
	s_cbranch_scc1 .LBB7_75
	s_branch .LBB7_78
.LBB7_76:                               ;   in Loop: Header=BB7_32 Depth=1
                                        ; implicit-def: $vgpr18_vgpr19
	s_mov_b32 s15, 0
	s_branch .LBB7_79
.LBB7_77:                               ;   in Loop: Header=BB7_32 Depth=1
	v_mov_b32_e32 v18, 0
	v_mov_b32_e32 v19, 0
.LBB7_78:                               ;   in Loop: Header=BB7_32 Depth=1
	s_mov_b64 s[10:11], s[0:1]
	s_mov_b32 s15, 0
	s_cbranch_execnz .LBB7_80
.LBB7_79:                               ;   in Loop: Header=BB7_32 Depth=1
	global_load_dwordx2 v[18:19], v26, s[0:1]
	s_add_i32 s15, s14, -8
.LBB7_80:                               ;   in Loop: Header=BB7_32 Depth=1
	s_cmp_gt_u32 s15, 7
	s_cbranch_scc1 .LBB7_84
; %bb.81:                               ;   in Loop: Header=BB7_32 Depth=1
	s_cmp_eq_u32 s15, 0
	s_cbranch_scc1 .LBB7_85
; %bb.82:                               ;   in Loop: Header=BB7_32 Depth=1
	v_mov_b32_e32 v20, 0
	s_mov_b64 s[0:1], 0
	v_mov_b32_e32 v21, 0
	s_mov_b64 s[12:13], s[10:11]
.LBB7_83:                               ;   Parent Loop BB7_32 Depth=1
                                        ; =>  This Inner Loop Header: Depth=2
	global_load_ubyte v6, v26, s[12:13]
	s_add_i32 s15, s15, -1
	s_waitcnt vmcnt(0)
	v_and_b32_e32 v25, 0xffff, v6
	v_lshlrev_b64 v[6:7], s0, v[25:26]
	s_add_u32 s0, s0, 8
	s_addc_u32 s1, s1, 0
	s_add_u32 s12, s12, 1
	s_addc_u32 s13, s13, 0
	v_or_b32_e32 v20, v6, v20
	s_cmp_lg_u32 s15, 0
	v_or_b32_e32 v21, v7, v21
	s_cbranch_scc1 .LBB7_83
	s_branch .LBB7_86
.LBB7_84:                               ;   in Loop: Header=BB7_32 Depth=1
	s_branch .LBB7_87
.LBB7_85:                               ;   in Loop: Header=BB7_32 Depth=1
	v_mov_b32_e32 v20, 0
	v_mov_b32_e32 v21, 0
.LBB7_86:                               ;   in Loop: Header=BB7_32 Depth=1
	s_cbranch_execnz .LBB7_88
.LBB7_87:                               ;   in Loop: Header=BB7_32 Depth=1
	global_load_dwordx2 v[20:21], v26, s[10:11]
.LBB7_88:                               ;   in Loop: Header=BB7_32 Depth=1
	v_readfirstlane_b32 s0, v31
	v_mov_b32_e32 v6, 0
	v_mov_b32_e32 v7, 0
	v_cmp_eq_u32_e64 s[0:1], s0, v31
	s_and_saveexec_b64 s[10:11], s[0:1]
	s_cbranch_execz .LBB7_94
; %bb.89:                               ;   in Loop: Header=BB7_32 Depth=1
	global_load_dwordx2 v[24:25], v26, s[2:3] offset:24 glc
	s_waitcnt vmcnt(0)
	buffer_wbinvl1_vol
	global_load_dwordx2 v[6:7], v26, s[2:3] offset:40
	global_load_dwordx2 v[22:23], v26, s[2:3]
	s_waitcnt vmcnt(1)
	v_and_b32_e32 v6, v6, v24
	v_and_b32_e32 v7, v7, v25
	v_mul_lo_u32 v7, v7, 24
	v_mul_hi_u32 v27, v6, 24
	v_mul_lo_u32 v6, v6, 24
	v_add_u32_e32 v7, v27, v7
	s_waitcnt vmcnt(0)
	v_add_co_u32_e32 v6, vcc, v22, v6
	v_addc_co_u32_e32 v7, vcc, v23, v7, vcc
	global_load_dwordx2 v[22:23], v[6:7], off glc
	s_waitcnt vmcnt(0)
	global_atomic_cmpswap_x2 v[6:7], v26, v[22:25], s[2:3] offset:24 glc
	s_waitcnt vmcnt(0)
	buffer_wbinvl1_vol
	v_cmp_ne_u64_e32 vcc, v[6:7], v[24:25]
	s_and_saveexec_b64 s[12:13], vcc
	s_cbranch_execz .LBB7_93
; %bb.90:                               ;   in Loop: Header=BB7_32 Depth=1
	s_mov_b64 s[14:15], 0
.LBB7_91:                               ;   Parent Loop BB7_32 Depth=1
                                        ; =>  This Inner Loop Header: Depth=2
	s_sleep 1
	global_load_dwordx2 v[22:23], v26, s[2:3] offset:40
	global_load_dwordx2 v[27:28], v26, s[2:3]
	v_mov_b32_e32 v25, v7
	v_mov_b32_e32 v24, v6
	s_waitcnt vmcnt(1)
	v_and_b32_e32 v6, v22, v24
	s_waitcnt vmcnt(0)
	v_mad_u64_u32 v[6:7], s[16:17], v6, 24, v[27:28]
	v_and_b32_e32 v22, v23, v25
	v_mad_u64_u32 v[22:23], s[16:17], v22, 24, v[7:8]
	v_mov_b32_e32 v7, v22
	global_load_dwordx2 v[22:23], v[6:7], off glc
	s_waitcnt vmcnt(0)
	global_atomic_cmpswap_x2 v[6:7], v26, v[22:25], s[2:3] offset:24 glc
	s_waitcnt vmcnt(0)
	buffer_wbinvl1_vol
	v_cmp_eq_u64_e32 vcc, v[6:7], v[24:25]
	s_or_b64 s[14:15], vcc, s[14:15]
	s_andn2_b64 exec, exec, s[14:15]
	s_cbranch_execnz .LBB7_91
; %bb.92:                               ;   in Loop: Header=BB7_32 Depth=1
	s_or_b64 exec, exec, s[14:15]
.LBB7_93:                               ;   in Loop: Header=BB7_32 Depth=1
	s_or_b64 exec, exec, s[12:13]
.LBB7_94:                               ;   in Loop: Header=BB7_32 Depth=1
	s_or_b64 exec, exec, s[10:11]
	global_load_dwordx2 v[27:28], v26, s[2:3] offset:40
	global_load_dwordx4 v[22:25], v26, s[2:3]
	v_readfirstlane_b32 s11, v7
	v_readfirstlane_b32 s10, v6
	s_mov_b64 s[12:13], exec
	s_waitcnt vmcnt(1)
	v_readfirstlane_b32 s14, v27
	v_readfirstlane_b32 s15, v28
	s_and_b64 s[14:15], s[14:15], s[10:11]
	s_mul_i32 s16, s15, 24
	s_mul_hi_u32 s17, s14, 24
	s_mul_i32 s18, s14, 24
	s_add_i32 s16, s17, s16
	v_mov_b32_e32 v6, s16
	s_waitcnt vmcnt(0)
	v_add_co_u32_e32 v27, vcc, s18, v22
	v_addc_co_u32_e32 v28, vcc, v23, v6, vcc
	s_and_saveexec_b64 s[16:17], s[0:1]
	s_cbranch_execz .LBB7_96
; %bb.95:                               ;   in Loop: Header=BB7_32 Depth=1
	v_mov_b32_e32 v6, s12
	v_mov_b32_e32 v7, s13
	global_store_dwordx4 v[27:28], v[6:9], off offset:8
.LBB7_96:                               ;   in Loop: Header=BB7_32 Depth=1
	s_or_b64 exec, exec, s[16:17]
	s_lshl_b64 s[12:13], s[14:15], 12
	v_mov_b32_e32 v6, s13
	v_add_co_u32_e32 v24, vcc, s12, v24
	v_addc_co_u32_e32 v32, vcc, v25, v6, vcc
	v_cmp_lt_u64_e64 vcc, s[6:7], 57
	v_and_b32_e32 v6, 2, v4
	s_lshl_b32 s12, s8, 2
	v_cndmask_b32_e32 v6, 0, v6, vcc
	s_add_i32 s12, s12, 28
	v_and_b32_e32 v0, 0xffffff1f, v0
	s_and_b32 s12, s12, 0x1e0
	v_or_b32_e32 v0, v0, v6
	v_or_b32_e32 v0, s12, v0
	v_readfirstlane_b32 s12, v24
	v_readfirstlane_b32 s13, v32
	s_nop 4
	global_store_dwordx4 v30, v[0:3], s[12:13]
	global_store_dwordx4 v30, v[10:13], s[12:13] offset:16
	global_store_dwordx4 v30, v[14:17], s[12:13] offset:32
	global_store_dwordx4 v30, v[18:21], s[12:13] offset:48
	s_and_saveexec_b64 s[12:13], s[0:1]
	s_cbranch_execz .LBB7_104
; %bb.97:                               ;   in Loop: Header=BB7_32 Depth=1
	global_load_dwordx2 v[12:13], v26, s[2:3] offset:32 glc
	global_load_dwordx2 v[0:1], v26, s[2:3] offset:40
	v_mov_b32_e32 v10, s10
	v_mov_b32_e32 v11, s11
	s_waitcnt vmcnt(0)
	v_readfirstlane_b32 s14, v0
	v_readfirstlane_b32 s15, v1
	s_and_b64 s[14:15], s[14:15], s[10:11]
	s_mul_i32 s15, s15, 24
	s_mul_hi_u32 s16, s14, 24
	s_mul_i32 s14, s14, 24
	s_add_i32 s15, s16, s15
	v_mov_b32_e32 v0, s15
	v_add_co_u32_e32 v6, vcc, s14, v22
	v_addc_co_u32_e32 v7, vcc, v23, v0, vcc
	global_store_dwordx2 v[6:7], v[12:13], off
	s_waitcnt vmcnt(0)
	global_atomic_cmpswap_x2 v[2:3], v26, v[10:13], s[2:3] offset:32 glc
	s_waitcnt vmcnt(0)
	v_cmp_ne_u64_e32 vcc, v[2:3], v[12:13]
	s_and_saveexec_b64 s[14:15], vcc
	s_cbranch_execz .LBB7_100
; %bb.98:                               ;   in Loop: Header=BB7_32 Depth=1
	s_mov_b64 s[16:17], 0
.LBB7_99:                               ;   Parent Loop BB7_32 Depth=1
                                        ; =>  This Inner Loop Header: Depth=2
	s_sleep 1
	global_store_dwordx2 v[6:7], v[2:3], off
	v_mov_b32_e32 v0, s10
	v_mov_b32_e32 v1, s11
	s_waitcnt vmcnt(0)
	global_atomic_cmpswap_x2 v[0:1], v26, v[0:3], s[2:3] offset:32 glc
	s_waitcnt vmcnt(0)
	v_cmp_eq_u64_e32 vcc, v[0:1], v[2:3]
	v_mov_b32_e32 v3, v1
	s_or_b64 s[16:17], vcc, s[16:17]
	v_mov_b32_e32 v2, v0
	s_andn2_b64 exec, exec, s[16:17]
	s_cbranch_execnz .LBB7_99
.LBB7_100:                              ;   in Loop: Header=BB7_32 Depth=1
	s_or_b64 exec, exec, s[14:15]
	global_load_dwordx2 v[0:1], v26, s[2:3] offset:16
	s_mov_b64 s[16:17], exec
	v_mbcnt_lo_u32_b32 v2, s16, 0
	v_mbcnt_hi_u32_b32 v2, s17, v2
	v_cmp_eq_u32_e32 vcc, 0, v2
	s_and_saveexec_b64 s[14:15], vcc
	s_cbranch_execz .LBB7_102
; %bb.101:                              ;   in Loop: Header=BB7_32 Depth=1
	s_bcnt1_i32_b64 s16, s[16:17]
	v_mov_b32_e32 v25, s16
	s_waitcnt vmcnt(0)
	global_atomic_add_x2 v[0:1], v[25:26], off offset:8
.LBB7_102:                              ;   in Loop: Header=BB7_32 Depth=1
	s_or_b64 exec, exec, s[14:15]
	s_waitcnt vmcnt(0)
	global_load_dwordx2 v[2:3], v[0:1], off offset:16
	s_waitcnt vmcnt(0)
	v_cmp_eq_u64_e32 vcc, 0, v[2:3]
	s_cbranch_vccnz .LBB7_104
; %bb.103:                              ;   in Loop: Header=BB7_32 Depth=1
	global_load_dword v25, v[0:1], off offset:24
	s_waitcnt vmcnt(0)
	v_readfirstlane_b32 s14, v25
	s_and_b32 m0, s14, 0xffffff
	global_store_dwordx2 v[2:3], v[25:26], off
	s_sendmsg sendmsg(MSG_INTERRUPT)
.LBB7_104:                              ;   in Loop: Header=BB7_32 Depth=1
	s_or_b64 exec, exec, s[12:13]
	v_add_co_u32_e32 v0, vcc, v24, v30
	v_addc_co_u32_e32 v1, vcc, 0, v32, vcc
	s_branch .LBB7_108
.LBB7_105:                              ;   in Loop: Header=BB7_108 Depth=2
	s_or_b64 exec, exec, s[12:13]
	v_readfirstlane_b32 s12, v2
	s_cmp_eq_u32 s12, 0
	s_cbranch_scc1 .LBB7_107
; %bb.106:                              ;   in Loop: Header=BB7_108 Depth=2
	s_sleep 1
	s_cbranch_execnz .LBB7_108
	s_branch .LBB7_110
.LBB7_107:                              ;   in Loop: Header=BB7_32 Depth=1
	s_branch .LBB7_110
.LBB7_108:                              ;   Parent Loop BB7_32 Depth=1
                                        ; =>  This Inner Loop Header: Depth=2
	v_mov_b32_e32 v2, 1
	s_and_saveexec_b64 s[12:13], s[0:1]
	s_cbranch_execz .LBB7_105
; %bb.109:                              ;   in Loop: Header=BB7_108 Depth=2
	global_load_dword v2, v[27:28], off offset:20 glc
	s_waitcnt vmcnt(0)
	buffer_wbinvl1_vol
	v_and_b32_e32 v2, 1, v2
	s_branch .LBB7_105
.LBB7_110:                              ;   in Loop: Header=BB7_32 Depth=1
	global_load_dwordx2 v[0:1], v[0:1], off
	s_and_saveexec_b64 s[12:13], s[0:1]
	s_cbranch_execz .LBB7_31
; %bb.111:                              ;   in Loop: Header=BB7_32 Depth=1
	global_load_dwordx2 v[2:3], v26, s[2:3] offset:40
	global_load_dwordx2 v[14:15], v26, s[2:3] offset:24 glc
	global_load_dwordx2 v[6:7], v26, s[2:3]
	s_waitcnt vmcnt(2)
	v_readfirstlane_b32 s14, v2
	v_readfirstlane_b32 s15, v3
	s_add_u32 s16, s14, 1
	s_addc_u32 s17, s15, 0
	s_add_u32 s0, s16, s10
	s_addc_u32 s1, s17, s11
	s_cmp_eq_u64 s[0:1], 0
	s_cselect_b32 s1, s17, s1
	s_cselect_b32 s0, s16, s0
	s_and_b64 s[10:11], s[0:1], s[14:15]
	s_mul_i32 s11, s11, 24
	s_mul_hi_u32 s14, s10, 24
	s_mul_i32 s10, s10, 24
	s_add_i32 s11, s14, s11
	v_mov_b32_e32 v3, s11
	s_waitcnt vmcnt(0)
	v_add_co_u32_e32 v2, vcc, s10, v6
	v_addc_co_u32_e32 v3, vcc, v7, v3, vcc
	v_mov_b32_e32 v12, s0
	global_store_dwordx2 v[2:3], v[14:15], off
	v_mov_b32_e32 v13, s1
	s_waitcnt vmcnt(0)
	global_atomic_cmpswap_x2 v[12:13], v26, v[12:15], s[2:3] offset:24 glc
	s_waitcnt vmcnt(0)
	v_cmp_ne_u64_e32 vcc, v[12:13], v[14:15]
	s_and_b64 exec, exec, vcc
	s_cbranch_execz .LBB7_31
; %bb.112:                              ;   in Loop: Header=BB7_32 Depth=1
	s_mov_b64 s[10:11], 0
.LBB7_113:                              ;   Parent Loop BB7_32 Depth=1
                                        ; =>  This Inner Loop Header: Depth=2
	s_sleep 1
	global_store_dwordx2 v[2:3], v[12:13], off
	v_mov_b32_e32 v10, s0
	v_mov_b32_e32 v11, s1
	s_waitcnt vmcnt(0)
	global_atomic_cmpswap_x2 v[6:7], v26, v[10:13], s[2:3] offset:24 glc
	s_waitcnt vmcnt(0)
	v_cmp_eq_u64_e32 vcc, v[6:7], v[12:13]
	v_mov_b32_e32 v13, v7
	s_or_b64 s[10:11], vcc, s[10:11]
	v_mov_b32_e32 v12, v6
	s_andn2_b64 exec, exec, s[10:11]
	s_cbranch_execnz .LBB7_113
	s_branch .LBB7_31
.LBB7_114:
	s_branch .LBB7_142
.LBB7_115:
                                        ; implicit-def: $vgpr0_vgpr1
	s_cbranch_execz .LBB7_142
; %bb.116:
	v_readfirstlane_b32 s0, v31
	v_mov_b32_e32 v7, 0
	v_mov_b32_e32 v8, 0
	v_cmp_eq_u32_e64 s[0:1], s0, v31
	s_and_saveexec_b64 s[4:5], s[0:1]
	s_cbranch_execz .LBB7_122
; %bb.117:
	s_waitcnt vmcnt(0)
	v_mov_b32_e32 v0, 0
	global_load_dwordx2 v[9:10], v0, s[2:3] offset:24 glc
	s_waitcnt vmcnt(0)
	buffer_wbinvl1_vol
	global_load_dwordx2 v[1:2], v0, s[2:3] offset:40
	global_load_dwordx2 v[6:7], v0, s[2:3]
	s_waitcnt vmcnt(1)
	v_and_b32_e32 v1, v1, v9
	v_and_b32_e32 v2, v2, v10
	v_mul_lo_u32 v2, v2, 24
	v_mul_hi_u32 v3, v1, 24
	v_mul_lo_u32 v1, v1, 24
	v_add_u32_e32 v2, v3, v2
	s_waitcnt vmcnt(0)
	v_add_co_u32_e32 v1, vcc, v6, v1
	v_addc_co_u32_e32 v2, vcc, v7, v2, vcc
	global_load_dwordx2 v[7:8], v[1:2], off glc
	s_waitcnt vmcnt(0)
	global_atomic_cmpswap_x2 v[7:8], v0, v[7:10], s[2:3] offset:24 glc
	s_waitcnt vmcnt(0)
	buffer_wbinvl1_vol
	v_cmp_ne_u64_e32 vcc, v[7:8], v[9:10]
	s_and_saveexec_b64 s[6:7], vcc
	s_cbranch_execz .LBB7_121
; %bb.118:
	s_mov_b64 s[8:9], 0
.LBB7_119:                              ; =>This Inner Loop Header: Depth=1
	s_sleep 1
	global_load_dwordx2 v[1:2], v0, s[2:3] offset:40
	global_load_dwordx2 v[11:12], v0, s[2:3]
	v_mov_b32_e32 v10, v8
	v_mov_b32_e32 v9, v7
	s_waitcnt vmcnt(1)
	v_and_b32_e32 v1, v1, v9
	s_waitcnt vmcnt(0)
	v_mad_u64_u32 v[6:7], s[10:11], v1, 24, v[11:12]
	v_and_b32_e32 v2, v2, v10
	v_mov_b32_e32 v1, v7
	v_mad_u64_u32 v[1:2], s[10:11], v2, 24, v[1:2]
	v_mov_b32_e32 v7, v1
	global_load_dwordx2 v[7:8], v[6:7], off glc
	s_waitcnt vmcnt(0)
	global_atomic_cmpswap_x2 v[7:8], v0, v[7:10], s[2:3] offset:24 glc
	s_waitcnt vmcnt(0)
	buffer_wbinvl1_vol
	v_cmp_eq_u64_e32 vcc, v[7:8], v[9:10]
	s_or_b64 s[8:9], vcc, s[8:9]
	s_andn2_b64 exec, exec, s[8:9]
	s_cbranch_execnz .LBB7_119
; %bb.120:
	s_or_b64 exec, exec, s[8:9]
.LBB7_121:
	s_or_b64 exec, exec, s[6:7]
.LBB7_122:
	s_or_b64 exec, exec, s[4:5]
	v_mov_b32_e32 v6, 0
	global_load_dwordx2 v[9:10], v6, s[2:3] offset:40
	global_load_dwordx4 v[0:3], v6, s[2:3]
	v_readfirstlane_b32 s5, v8
	v_readfirstlane_b32 s4, v7
	s_mov_b64 s[6:7], exec
	s_waitcnt vmcnt(1)
	v_readfirstlane_b32 s8, v9
	v_readfirstlane_b32 s9, v10
	s_and_b64 s[8:9], s[8:9], s[4:5]
	s_mul_i32 s10, s9, 24
	s_mul_hi_u32 s11, s8, 24
	s_mul_i32 s12, s8, 24
	s_add_i32 s10, s11, s10
	v_mov_b32_e32 v7, s10
	s_waitcnt vmcnt(0)
	v_add_co_u32_e32 v8, vcc, s12, v0
	v_addc_co_u32_e32 v9, vcc, v1, v7, vcc
	s_and_saveexec_b64 s[10:11], s[0:1]
	s_cbranch_execz .LBB7_124
; %bb.123:
	v_mov_b32_e32 v11, s7
	v_mov_b32_e32 v10, s6
	;; [unrolled: 1-line block ×4, first 2 shown]
	global_store_dwordx4 v[8:9], v[10:13], off offset:8
.LBB7_124:
	s_or_b64 exec, exec, s[10:11]
	s_lshl_b64 s[6:7], s[8:9], 12
	v_mov_b32_e32 v7, s7
	v_add_co_u32_e32 v2, vcc, s6, v2
	v_addc_co_u32_e32 v3, vcc, v3, v7, vcc
	s_movk_i32 s6, 0xff1f
	v_and_or_b32 v4, v4, s6, 32
	v_add_co_u32_e32 v10, vcc, v2, v30
	s_mov_b32 s8, 0
	v_mov_b32_e32 v7, v6
	v_readfirstlane_b32 s6, v2
	v_readfirstlane_b32 s7, v3
	v_addc_co_u32_e32 v11, vcc, 0, v3, vcc
	s_mov_b32 s9, s8
	s_mov_b32 s10, s8
	;; [unrolled: 1-line block ×3, first 2 shown]
	s_nop 0
	global_store_dwordx4 v30, v[4:7], s[6:7]
	v_mov_b32_e32 v2, s8
	v_mov_b32_e32 v3, s9
	;; [unrolled: 1-line block ×4, first 2 shown]
	global_store_dwordx4 v30, v[2:5], s[6:7] offset:16
	global_store_dwordx4 v30, v[2:5], s[6:7] offset:32
	;; [unrolled: 1-line block ×3, first 2 shown]
	s_and_saveexec_b64 s[6:7], s[0:1]
	s_cbranch_execz .LBB7_132
; %bb.125:
	v_mov_b32_e32 v6, 0
	global_load_dwordx2 v[14:15], v6, s[2:3] offset:32 glc
	global_load_dwordx2 v[2:3], v6, s[2:3] offset:40
	v_mov_b32_e32 v12, s4
	v_mov_b32_e32 v13, s5
	s_waitcnt vmcnt(0)
	v_readfirstlane_b32 s8, v2
	v_readfirstlane_b32 s9, v3
	s_and_b64 s[8:9], s[8:9], s[4:5]
	s_mul_i32 s9, s9, 24
	s_mul_hi_u32 s10, s8, 24
	s_mul_i32 s8, s8, 24
	s_add_i32 s9, s10, s9
	v_mov_b32_e32 v2, s9
	v_add_co_u32_e32 v4, vcc, s8, v0
	v_addc_co_u32_e32 v5, vcc, v1, v2, vcc
	global_store_dwordx2 v[4:5], v[14:15], off
	s_waitcnt vmcnt(0)
	global_atomic_cmpswap_x2 v[2:3], v6, v[12:15], s[2:3] offset:32 glc
	s_waitcnt vmcnt(0)
	v_cmp_ne_u64_e32 vcc, v[2:3], v[14:15]
	s_and_saveexec_b64 s[8:9], vcc
	s_cbranch_execz .LBB7_128
; %bb.126:
	s_mov_b64 s[10:11], 0
.LBB7_127:                              ; =>This Inner Loop Header: Depth=1
	s_sleep 1
	global_store_dwordx2 v[4:5], v[2:3], off
	v_mov_b32_e32 v0, s4
	v_mov_b32_e32 v1, s5
	s_waitcnt vmcnt(0)
	global_atomic_cmpswap_x2 v[0:1], v6, v[0:3], s[2:3] offset:32 glc
	s_waitcnt vmcnt(0)
	v_cmp_eq_u64_e32 vcc, v[0:1], v[2:3]
	v_mov_b32_e32 v3, v1
	s_or_b64 s[10:11], vcc, s[10:11]
	v_mov_b32_e32 v2, v0
	s_andn2_b64 exec, exec, s[10:11]
	s_cbranch_execnz .LBB7_127
.LBB7_128:
	s_or_b64 exec, exec, s[8:9]
	v_mov_b32_e32 v3, 0
	global_load_dwordx2 v[0:1], v3, s[2:3] offset:16
	s_mov_b64 s[8:9], exec
	v_mbcnt_lo_u32_b32 v2, s8, 0
	v_mbcnt_hi_u32_b32 v2, s9, v2
	v_cmp_eq_u32_e32 vcc, 0, v2
	s_and_saveexec_b64 s[10:11], vcc
	s_cbranch_execz .LBB7_130
; %bb.129:
	s_bcnt1_i32_b64 s8, s[8:9]
	v_mov_b32_e32 v2, s8
	s_waitcnt vmcnt(0)
	global_atomic_add_x2 v[0:1], v[2:3], off offset:8
.LBB7_130:
	s_or_b64 exec, exec, s[10:11]
	s_waitcnt vmcnt(0)
	global_load_dwordx2 v[2:3], v[0:1], off offset:16
	s_waitcnt vmcnt(0)
	v_cmp_eq_u64_e32 vcc, 0, v[2:3]
	s_cbranch_vccnz .LBB7_132
; %bb.131:
	global_load_dword v0, v[0:1], off offset:24
	v_mov_b32_e32 v1, 0
	s_waitcnt vmcnt(0)
	v_readfirstlane_b32 s8, v0
	s_and_b32 m0, s8, 0xffffff
	global_store_dwordx2 v[2:3], v[0:1], off
	s_sendmsg sendmsg(MSG_INTERRUPT)
.LBB7_132:
	s_or_b64 exec, exec, s[6:7]
	s_branch .LBB7_136
.LBB7_133:                              ;   in Loop: Header=BB7_136 Depth=1
	s_or_b64 exec, exec, s[6:7]
	v_readfirstlane_b32 s6, v0
	s_cmp_eq_u32 s6, 0
	s_cbranch_scc1 .LBB7_135
; %bb.134:                              ;   in Loop: Header=BB7_136 Depth=1
	s_sleep 1
	s_cbranch_execnz .LBB7_136
	s_branch .LBB7_138
.LBB7_135:
	s_branch .LBB7_138
.LBB7_136:                              ; =>This Inner Loop Header: Depth=1
	v_mov_b32_e32 v0, 1
	s_and_saveexec_b64 s[6:7], s[0:1]
	s_cbranch_execz .LBB7_133
; %bb.137:                              ;   in Loop: Header=BB7_136 Depth=1
	global_load_dword v0, v[8:9], off offset:20 glc
	s_waitcnt vmcnt(0)
	buffer_wbinvl1_vol
	v_and_b32_e32 v0, 1, v0
	s_branch .LBB7_133
.LBB7_138:
	global_load_dwordx2 v[0:1], v[10:11], off
	s_and_saveexec_b64 s[6:7], s[0:1]
	s_cbranch_execz .LBB7_141
; %bb.139:
	v_mov_b32_e32 v8, 0
	global_load_dwordx2 v[2:3], v8, s[2:3] offset:40
	global_load_dwordx2 v[11:12], v8, s[2:3] offset:24 glc
	global_load_dwordx2 v[4:5], v8, s[2:3]
	s_waitcnt vmcnt(2)
	v_readfirstlane_b32 s8, v2
	v_readfirstlane_b32 s9, v3
	s_add_u32 s10, s8, 1
	s_addc_u32 s11, s9, 0
	s_add_u32 s0, s10, s4
	s_addc_u32 s1, s11, s5
	s_cmp_eq_u64 s[0:1], 0
	s_cselect_b32 s1, s11, s1
	s_cselect_b32 s0, s10, s0
	s_and_b64 s[4:5], s[0:1], s[8:9]
	s_mul_i32 s5, s5, 24
	s_mul_hi_u32 s8, s4, 24
	s_mul_i32 s4, s4, 24
	s_add_i32 s5, s8, s5
	v_mov_b32_e32 v2, s5
	s_waitcnt vmcnt(0)
	v_add_co_u32_e32 v6, vcc, s4, v4
	v_addc_co_u32_e32 v7, vcc, v5, v2, vcc
	v_mov_b32_e32 v9, s0
	global_store_dwordx2 v[6:7], v[11:12], off
	v_mov_b32_e32 v10, s1
	s_waitcnt vmcnt(0)
	global_atomic_cmpswap_x2 v[4:5], v8, v[9:12], s[2:3] offset:24 glc
	s_mov_b64 s[4:5], 0
	s_waitcnt vmcnt(0)
	v_cmp_ne_u64_e32 vcc, v[4:5], v[11:12]
	s_and_b64 exec, exec, vcc
	s_cbranch_execz .LBB7_141
.LBB7_140:                              ; =>This Inner Loop Header: Depth=1
	s_sleep 1
	global_store_dwordx2 v[6:7], v[4:5], off
	v_mov_b32_e32 v2, s0
	v_mov_b32_e32 v3, s1
	s_waitcnt vmcnt(0)
	global_atomic_cmpswap_x2 v[2:3], v8, v[2:5], s[2:3] offset:24 glc
	s_waitcnt vmcnt(0)
	v_cmp_eq_u64_e32 vcc, v[2:3], v[4:5]
	v_mov_b32_e32 v5, v3
	s_or_b64 s[4:5], vcc, s[4:5]
	v_mov_b32_e32 v4, v2
	s_andn2_b64 exec, exec, s[4:5]
	s_cbranch_execnz .LBB7_140
.LBB7_141:
	s_or_b64 exec, exec, s[6:7]
.LBB7_142:
	s_getpc_b64 s[4:5]
	s_add_u32 s4, s4, .str.10@rel32@lo+4
	s_addc_u32 s5, s5, .str.10@rel32@hi+12
	s_cmp_lg_u64 s[4:5], 0
	s_cbranch_scc0 .LBB7_228
; %bb.143:
	v_mov_b32_e32 v26, 0
	s_waitcnt vmcnt(0)
	v_and_b32_e32 v2, -3, v0
	v_mov_b32_e32 v3, v1
	s_mov_b64 s[6:7], 52
	v_mov_b32_e32 v8, 2
	v_mov_b32_e32 v9, 1
	s_branch .LBB7_145
.LBB7_144:                              ;   in Loop: Header=BB7_145 Depth=1
	s_or_b64 exec, exec, s[12:13]
	s_sub_u32 s6, s6, s8
	s_subb_u32 s7, s7, s9
	s_add_u32 s4, s4, s8
	s_addc_u32 s5, s5, s9
	s_cmp_lg_u64 s[6:7], 0
	s_cbranch_scc0 .LBB7_227
.LBB7_145:                              ; =>This Loop Header: Depth=1
                                        ;     Child Loop BB7_148 Depth 2
                                        ;     Child Loop BB7_156 Depth 2
	;; [unrolled: 1-line block ×11, first 2 shown]
	v_cmp_lt_u64_e64 s[0:1], s[6:7], 56
	v_cmp_gt_u64_e64 s[10:11], s[6:7], 7
	s_and_b64 s[0:1], s[0:1], exec
	s_cselect_b32 s9, s7, 0
	s_cselect_b32 s8, s6, 56
	s_add_u32 s0, s4, 8
	s_addc_u32 s1, s5, 0
	s_and_b64 vcc, exec, s[10:11]
	s_cbranch_vccnz .LBB7_149
; %bb.146:                              ;   in Loop: Header=BB7_145 Depth=1
	s_cmp_eq_u64 s[6:7], 0
	s_cbranch_scc1 .LBB7_150
; %bb.147:                              ;   in Loop: Header=BB7_145 Depth=1
	v_mov_b32_e32 v4, 0
	s_lshl_b64 s[0:1], s[8:9], 3
	s_mov_b64 s[10:11], 0
	v_mov_b32_e32 v5, 0
	s_mov_b64 s[12:13], s[4:5]
.LBB7_148:                              ;   Parent Loop BB7_145 Depth=1
                                        ; =>  This Inner Loop Header: Depth=2
	global_load_ubyte v6, v26, s[12:13]
	s_waitcnt vmcnt(0)
	v_and_b32_e32 v25, 0xffff, v6
	v_lshlrev_b64 v[6:7], s10, v[25:26]
	s_add_u32 s10, s10, 8
	s_addc_u32 s11, s11, 0
	s_add_u32 s12, s12, 1
	s_addc_u32 s13, s13, 0
	v_or_b32_e32 v4, v6, v4
	s_cmp_lg_u32 s0, s10
	v_or_b32_e32 v5, v7, v5
	s_cbranch_scc1 .LBB7_148
	s_branch .LBB7_151
.LBB7_149:                              ;   in Loop: Header=BB7_145 Depth=1
	s_mov_b32 s14, 0
	s_branch .LBB7_152
.LBB7_150:                              ;   in Loop: Header=BB7_145 Depth=1
	v_mov_b32_e32 v4, 0
	v_mov_b32_e32 v5, 0
.LBB7_151:                              ;   in Loop: Header=BB7_145 Depth=1
	s_mov_b64 s[0:1], s[4:5]
	s_mov_b32 s14, 0
	s_cbranch_execnz .LBB7_153
.LBB7_152:                              ;   in Loop: Header=BB7_145 Depth=1
	global_load_dwordx2 v[4:5], v26, s[4:5]
	s_add_i32 s14, s8, -8
.LBB7_153:                              ;   in Loop: Header=BB7_145 Depth=1
	s_add_u32 s10, s0, 8
	s_addc_u32 s11, s1, 0
	s_cmp_gt_u32 s14, 7
	s_cbranch_scc1 .LBB7_157
; %bb.154:                              ;   in Loop: Header=BB7_145 Depth=1
	s_cmp_eq_u32 s14, 0
	s_cbranch_scc1 .LBB7_158
; %bb.155:                              ;   in Loop: Header=BB7_145 Depth=1
	v_mov_b32_e32 v10, 0
	s_mov_b64 s[10:11], 0
	v_mov_b32_e32 v11, 0
	s_mov_b64 s[12:13], 0
.LBB7_156:                              ;   Parent Loop BB7_145 Depth=1
                                        ; =>  This Inner Loop Header: Depth=2
	s_add_u32 s16, s0, s12
	s_addc_u32 s17, s1, s13
	global_load_ubyte v6, v26, s[16:17]
	s_add_u32 s12, s12, 1
	s_addc_u32 s13, s13, 0
	s_waitcnt vmcnt(0)
	v_and_b32_e32 v25, 0xffff, v6
	v_lshlrev_b64 v[6:7], s10, v[25:26]
	s_add_u32 s10, s10, 8
	s_addc_u32 s11, s11, 0
	v_or_b32_e32 v10, v6, v10
	s_cmp_lg_u32 s14, s12
	v_or_b32_e32 v11, v7, v11
	s_cbranch_scc1 .LBB7_156
	s_branch .LBB7_159
.LBB7_157:                              ;   in Loop: Header=BB7_145 Depth=1
                                        ; implicit-def: $vgpr10_vgpr11
	s_mov_b32 s15, 0
	s_branch .LBB7_160
.LBB7_158:                              ;   in Loop: Header=BB7_145 Depth=1
	v_mov_b32_e32 v10, 0
	v_mov_b32_e32 v11, 0
.LBB7_159:                              ;   in Loop: Header=BB7_145 Depth=1
	s_mov_b64 s[10:11], s[0:1]
	s_mov_b32 s15, 0
	s_cbranch_execnz .LBB7_161
.LBB7_160:                              ;   in Loop: Header=BB7_145 Depth=1
	global_load_dwordx2 v[10:11], v26, s[0:1]
	s_add_i32 s15, s14, -8
.LBB7_161:                              ;   in Loop: Header=BB7_145 Depth=1
	s_add_u32 s0, s10, 8
	s_addc_u32 s1, s11, 0
	s_cmp_gt_u32 s15, 7
	s_cbranch_scc1 .LBB7_165
; %bb.162:                              ;   in Loop: Header=BB7_145 Depth=1
	s_cmp_eq_u32 s15, 0
	s_cbranch_scc1 .LBB7_166
; %bb.163:                              ;   in Loop: Header=BB7_145 Depth=1
	v_mov_b32_e32 v12, 0
	s_mov_b64 s[0:1], 0
	v_mov_b32_e32 v13, 0
	s_mov_b64 s[12:13], 0
.LBB7_164:                              ;   Parent Loop BB7_145 Depth=1
                                        ; =>  This Inner Loop Header: Depth=2
	s_add_u32 s16, s10, s12
	s_addc_u32 s17, s11, s13
	global_load_ubyte v6, v26, s[16:17]
	s_add_u32 s12, s12, 1
	s_addc_u32 s13, s13, 0
	s_waitcnt vmcnt(0)
	v_and_b32_e32 v25, 0xffff, v6
	v_lshlrev_b64 v[6:7], s0, v[25:26]
	s_add_u32 s0, s0, 8
	s_addc_u32 s1, s1, 0
	v_or_b32_e32 v12, v6, v12
	s_cmp_lg_u32 s15, s12
	v_or_b32_e32 v13, v7, v13
	s_cbranch_scc1 .LBB7_164
	s_branch .LBB7_167
.LBB7_165:                              ;   in Loop: Header=BB7_145 Depth=1
	s_mov_b32 s14, 0
	s_branch .LBB7_168
.LBB7_166:                              ;   in Loop: Header=BB7_145 Depth=1
	v_mov_b32_e32 v12, 0
	v_mov_b32_e32 v13, 0
.LBB7_167:                              ;   in Loop: Header=BB7_145 Depth=1
	s_mov_b64 s[0:1], s[10:11]
	s_mov_b32 s14, 0
	s_cbranch_execnz .LBB7_169
.LBB7_168:                              ;   in Loop: Header=BB7_145 Depth=1
	global_load_dwordx2 v[12:13], v26, s[10:11]
	s_add_i32 s14, s15, -8
.LBB7_169:                              ;   in Loop: Header=BB7_145 Depth=1
	s_add_u32 s10, s0, 8
	s_addc_u32 s11, s1, 0
	s_cmp_gt_u32 s14, 7
	s_cbranch_scc1 .LBB7_173
; %bb.170:                              ;   in Loop: Header=BB7_145 Depth=1
	s_cmp_eq_u32 s14, 0
	s_cbranch_scc1 .LBB7_174
; %bb.171:                              ;   in Loop: Header=BB7_145 Depth=1
	v_mov_b32_e32 v14, 0
	s_mov_b64 s[10:11], 0
	v_mov_b32_e32 v15, 0
	s_mov_b64 s[12:13], 0
.LBB7_172:                              ;   Parent Loop BB7_145 Depth=1
                                        ; =>  This Inner Loop Header: Depth=2
	s_add_u32 s16, s0, s12
	s_addc_u32 s17, s1, s13
	global_load_ubyte v6, v26, s[16:17]
	s_add_u32 s12, s12, 1
	s_addc_u32 s13, s13, 0
	s_waitcnt vmcnt(0)
	v_and_b32_e32 v25, 0xffff, v6
	v_lshlrev_b64 v[6:7], s10, v[25:26]
	s_add_u32 s10, s10, 8
	s_addc_u32 s11, s11, 0
	v_or_b32_e32 v14, v6, v14
	s_cmp_lg_u32 s14, s12
	v_or_b32_e32 v15, v7, v15
	s_cbranch_scc1 .LBB7_172
	s_branch .LBB7_175
.LBB7_173:                              ;   in Loop: Header=BB7_145 Depth=1
                                        ; implicit-def: $vgpr14_vgpr15
	s_mov_b32 s15, 0
	s_branch .LBB7_176
.LBB7_174:                              ;   in Loop: Header=BB7_145 Depth=1
	v_mov_b32_e32 v14, 0
	v_mov_b32_e32 v15, 0
.LBB7_175:                              ;   in Loop: Header=BB7_145 Depth=1
	s_mov_b64 s[10:11], s[0:1]
	s_mov_b32 s15, 0
	s_cbranch_execnz .LBB7_177
.LBB7_176:                              ;   in Loop: Header=BB7_145 Depth=1
	global_load_dwordx2 v[14:15], v26, s[0:1]
	s_add_i32 s15, s14, -8
.LBB7_177:                              ;   in Loop: Header=BB7_145 Depth=1
	s_add_u32 s0, s10, 8
	s_addc_u32 s1, s11, 0
	s_cmp_gt_u32 s15, 7
	s_cbranch_scc1 .LBB7_181
; %bb.178:                              ;   in Loop: Header=BB7_145 Depth=1
	s_cmp_eq_u32 s15, 0
	s_cbranch_scc1 .LBB7_182
; %bb.179:                              ;   in Loop: Header=BB7_145 Depth=1
	v_mov_b32_e32 v16, 0
	s_mov_b64 s[0:1], 0
	v_mov_b32_e32 v17, 0
	s_mov_b64 s[12:13], 0
.LBB7_180:                              ;   Parent Loop BB7_145 Depth=1
                                        ; =>  This Inner Loop Header: Depth=2
	s_add_u32 s16, s10, s12
	s_addc_u32 s17, s11, s13
	global_load_ubyte v6, v26, s[16:17]
	s_add_u32 s12, s12, 1
	s_addc_u32 s13, s13, 0
	s_waitcnt vmcnt(0)
	v_and_b32_e32 v25, 0xffff, v6
	v_lshlrev_b64 v[6:7], s0, v[25:26]
	s_add_u32 s0, s0, 8
	s_addc_u32 s1, s1, 0
	v_or_b32_e32 v16, v6, v16
	s_cmp_lg_u32 s15, s12
	v_or_b32_e32 v17, v7, v17
	s_cbranch_scc1 .LBB7_180
	s_branch .LBB7_183
.LBB7_181:                              ;   in Loop: Header=BB7_145 Depth=1
	s_mov_b32 s14, 0
	s_branch .LBB7_184
.LBB7_182:                              ;   in Loop: Header=BB7_145 Depth=1
	v_mov_b32_e32 v16, 0
	v_mov_b32_e32 v17, 0
.LBB7_183:                              ;   in Loop: Header=BB7_145 Depth=1
	s_mov_b64 s[0:1], s[10:11]
	s_mov_b32 s14, 0
	s_cbranch_execnz .LBB7_185
.LBB7_184:                              ;   in Loop: Header=BB7_145 Depth=1
	global_load_dwordx2 v[16:17], v26, s[10:11]
	s_add_i32 s14, s15, -8
.LBB7_185:                              ;   in Loop: Header=BB7_145 Depth=1
	s_add_u32 s10, s0, 8
	s_addc_u32 s11, s1, 0
	s_cmp_gt_u32 s14, 7
	s_cbranch_scc1 .LBB7_189
; %bb.186:                              ;   in Loop: Header=BB7_145 Depth=1
	s_cmp_eq_u32 s14, 0
	s_cbranch_scc1 .LBB7_190
; %bb.187:                              ;   in Loop: Header=BB7_145 Depth=1
	v_mov_b32_e32 v18, 0
	s_mov_b64 s[10:11], 0
	v_mov_b32_e32 v19, 0
	s_mov_b64 s[12:13], 0
.LBB7_188:                              ;   Parent Loop BB7_145 Depth=1
                                        ; =>  This Inner Loop Header: Depth=2
	s_add_u32 s16, s0, s12
	s_addc_u32 s17, s1, s13
	global_load_ubyte v6, v26, s[16:17]
	s_add_u32 s12, s12, 1
	s_addc_u32 s13, s13, 0
	s_waitcnt vmcnt(0)
	v_and_b32_e32 v25, 0xffff, v6
	v_lshlrev_b64 v[6:7], s10, v[25:26]
	s_add_u32 s10, s10, 8
	s_addc_u32 s11, s11, 0
	v_or_b32_e32 v18, v6, v18
	s_cmp_lg_u32 s14, s12
	v_or_b32_e32 v19, v7, v19
	s_cbranch_scc1 .LBB7_188
	s_branch .LBB7_191
.LBB7_189:                              ;   in Loop: Header=BB7_145 Depth=1
                                        ; implicit-def: $vgpr18_vgpr19
	s_mov_b32 s15, 0
	s_branch .LBB7_192
.LBB7_190:                              ;   in Loop: Header=BB7_145 Depth=1
	v_mov_b32_e32 v18, 0
	v_mov_b32_e32 v19, 0
.LBB7_191:                              ;   in Loop: Header=BB7_145 Depth=1
	s_mov_b64 s[10:11], s[0:1]
	s_mov_b32 s15, 0
	s_cbranch_execnz .LBB7_193
.LBB7_192:                              ;   in Loop: Header=BB7_145 Depth=1
	global_load_dwordx2 v[18:19], v26, s[0:1]
	s_add_i32 s15, s14, -8
.LBB7_193:                              ;   in Loop: Header=BB7_145 Depth=1
	s_cmp_gt_u32 s15, 7
	s_cbranch_scc1 .LBB7_197
; %bb.194:                              ;   in Loop: Header=BB7_145 Depth=1
	s_cmp_eq_u32 s15, 0
	s_cbranch_scc1 .LBB7_198
; %bb.195:                              ;   in Loop: Header=BB7_145 Depth=1
	v_mov_b32_e32 v20, 0
	s_mov_b64 s[0:1], 0
	v_mov_b32_e32 v21, 0
	s_mov_b64 s[12:13], s[10:11]
.LBB7_196:                              ;   Parent Loop BB7_145 Depth=1
                                        ; =>  This Inner Loop Header: Depth=2
	global_load_ubyte v6, v26, s[12:13]
	s_add_i32 s15, s15, -1
	s_waitcnt vmcnt(0)
	v_and_b32_e32 v25, 0xffff, v6
	v_lshlrev_b64 v[6:7], s0, v[25:26]
	s_add_u32 s0, s0, 8
	s_addc_u32 s1, s1, 0
	s_add_u32 s12, s12, 1
	s_addc_u32 s13, s13, 0
	v_or_b32_e32 v20, v6, v20
	s_cmp_lg_u32 s15, 0
	v_or_b32_e32 v21, v7, v21
	s_cbranch_scc1 .LBB7_196
	s_branch .LBB7_199
.LBB7_197:                              ;   in Loop: Header=BB7_145 Depth=1
	s_branch .LBB7_200
.LBB7_198:                              ;   in Loop: Header=BB7_145 Depth=1
	v_mov_b32_e32 v20, 0
	v_mov_b32_e32 v21, 0
.LBB7_199:                              ;   in Loop: Header=BB7_145 Depth=1
	s_cbranch_execnz .LBB7_201
.LBB7_200:                              ;   in Loop: Header=BB7_145 Depth=1
	global_load_dwordx2 v[20:21], v26, s[10:11]
.LBB7_201:                              ;   in Loop: Header=BB7_145 Depth=1
	v_readfirstlane_b32 s0, v31
	v_mov_b32_e32 v6, 0
	v_mov_b32_e32 v7, 0
	v_cmp_eq_u32_e64 s[0:1], s0, v31
	s_and_saveexec_b64 s[10:11], s[0:1]
	s_cbranch_execz .LBB7_207
; %bb.202:                              ;   in Loop: Header=BB7_145 Depth=1
	global_load_dwordx2 v[24:25], v26, s[2:3] offset:24 glc
	s_waitcnt vmcnt(0)
	buffer_wbinvl1_vol
	global_load_dwordx2 v[6:7], v26, s[2:3] offset:40
	global_load_dwordx2 v[22:23], v26, s[2:3]
	s_waitcnt vmcnt(1)
	v_and_b32_e32 v6, v6, v24
	v_and_b32_e32 v7, v7, v25
	v_mul_lo_u32 v7, v7, 24
	v_mul_hi_u32 v27, v6, 24
	v_mul_lo_u32 v6, v6, 24
	v_add_u32_e32 v7, v27, v7
	s_waitcnt vmcnt(0)
	v_add_co_u32_e32 v6, vcc, v22, v6
	v_addc_co_u32_e32 v7, vcc, v23, v7, vcc
	global_load_dwordx2 v[22:23], v[6:7], off glc
	s_waitcnt vmcnt(0)
	global_atomic_cmpswap_x2 v[6:7], v26, v[22:25], s[2:3] offset:24 glc
	s_waitcnt vmcnt(0)
	buffer_wbinvl1_vol
	v_cmp_ne_u64_e32 vcc, v[6:7], v[24:25]
	s_and_saveexec_b64 s[12:13], vcc
	s_cbranch_execz .LBB7_206
; %bb.203:                              ;   in Loop: Header=BB7_145 Depth=1
	s_mov_b64 s[14:15], 0
.LBB7_204:                              ;   Parent Loop BB7_145 Depth=1
                                        ; =>  This Inner Loop Header: Depth=2
	s_sleep 1
	global_load_dwordx2 v[22:23], v26, s[2:3] offset:40
	global_load_dwordx2 v[27:28], v26, s[2:3]
	v_mov_b32_e32 v25, v7
	v_mov_b32_e32 v24, v6
	s_waitcnt vmcnt(1)
	v_and_b32_e32 v6, v22, v24
	s_waitcnt vmcnt(0)
	v_mad_u64_u32 v[6:7], s[16:17], v6, 24, v[27:28]
	v_and_b32_e32 v22, v23, v25
	v_mad_u64_u32 v[22:23], s[16:17], v22, 24, v[7:8]
	v_mov_b32_e32 v7, v22
	global_load_dwordx2 v[22:23], v[6:7], off glc
	s_waitcnt vmcnt(0)
	global_atomic_cmpswap_x2 v[6:7], v26, v[22:25], s[2:3] offset:24 glc
	s_waitcnt vmcnt(0)
	buffer_wbinvl1_vol
	v_cmp_eq_u64_e32 vcc, v[6:7], v[24:25]
	s_or_b64 s[14:15], vcc, s[14:15]
	s_andn2_b64 exec, exec, s[14:15]
	s_cbranch_execnz .LBB7_204
; %bb.205:                              ;   in Loop: Header=BB7_145 Depth=1
	s_or_b64 exec, exec, s[14:15]
.LBB7_206:                              ;   in Loop: Header=BB7_145 Depth=1
	s_or_b64 exec, exec, s[12:13]
.LBB7_207:                              ;   in Loop: Header=BB7_145 Depth=1
	s_or_b64 exec, exec, s[10:11]
	global_load_dwordx2 v[27:28], v26, s[2:3] offset:40
	global_load_dwordx4 v[22:25], v26, s[2:3]
	v_readfirstlane_b32 s11, v7
	v_readfirstlane_b32 s10, v6
	s_mov_b64 s[12:13], exec
	s_waitcnt vmcnt(1)
	v_readfirstlane_b32 s14, v27
	v_readfirstlane_b32 s15, v28
	s_and_b64 s[14:15], s[14:15], s[10:11]
	s_mul_i32 s16, s15, 24
	s_mul_hi_u32 s17, s14, 24
	s_mul_i32 s18, s14, 24
	s_add_i32 s16, s17, s16
	v_mov_b32_e32 v6, s16
	s_waitcnt vmcnt(0)
	v_add_co_u32_e32 v27, vcc, s18, v22
	v_addc_co_u32_e32 v28, vcc, v23, v6, vcc
	s_and_saveexec_b64 s[16:17], s[0:1]
	s_cbranch_execz .LBB7_209
; %bb.208:                              ;   in Loop: Header=BB7_145 Depth=1
	v_mov_b32_e32 v6, s12
	v_mov_b32_e32 v7, s13
	global_store_dwordx4 v[27:28], v[6:9], off offset:8
.LBB7_209:                              ;   in Loop: Header=BB7_145 Depth=1
	s_or_b64 exec, exec, s[16:17]
	s_lshl_b64 s[12:13], s[14:15], 12
	v_mov_b32_e32 v6, s13
	v_add_co_u32_e32 v24, vcc, s12, v24
	v_addc_co_u32_e32 v32, vcc, v25, v6, vcc
	v_cmp_lt_u64_e64 vcc, s[6:7], 57
	v_and_b32_e32 v6, 2, v0
	s_lshl_b32 s12, s8, 2
	v_cndmask_b32_e32 v6, 0, v6, vcc
	s_add_i32 s12, s12, 28
	v_and_b32_e32 v2, 0xffffff1f, v2
	s_and_b32 s12, s12, 0x1e0
	v_or_b32_e32 v2, v2, v6
	v_or_b32_e32 v2, s12, v2
	v_readfirstlane_b32 s12, v24
	v_readfirstlane_b32 s13, v32
	s_nop 4
	global_store_dwordx4 v30, v[2:5], s[12:13]
	global_store_dwordx4 v30, v[10:13], s[12:13] offset:16
	global_store_dwordx4 v30, v[14:17], s[12:13] offset:32
	;; [unrolled: 1-line block ×3, first 2 shown]
	s_and_saveexec_b64 s[12:13], s[0:1]
	s_cbranch_execz .LBB7_217
; %bb.210:                              ;   in Loop: Header=BB7_145 Depth=1
	global_load_dwordx2 v[12:13], v26, s[2:3] offset:32 glc
	global_load_dwordx2 v[2:3], v26, s[2:3] offset:40
	v_mov_b32_e32 v10, s10
	v_mov_b32_e32 v11, s11
	s_waitcnt vmcnt(0)
	v_readfirstlane_b32 s14, v2
	v_readfirstlane_b32 s15, v3
	s_and_b64 s[14:15], s[14:15], s[10:11]
	s_mul_i32 s15, s15, 24
	s_mul_hi_u32 s16, s14, 24
	s_mul_i32 s14, s14, 24
	s_add_i32 s15, s16, s15
	v_mov_b32_e32 v2, s15
	v_add_co_u32_e32 v6, vcc, s14, v22
	v_addc_co_u32_e32 v7, vcc, v23, v2, vcc
	global_store_dwordx2 v[6:7], v[12:13], off
	s_waitcnt vmcnt(0)
	global_atomic_cmpswap_x2 v[4:5], v26, v[10:13], s[2:3] offset:32 glc
	s_waitcnt vmcnt(0)
	v_cmp_ne_u64_e32 vcc, v[4:5], v[12:13]
	s_and_saveexec_b64 s[14:15], vcc
	s_cbranch_execz .LBB7_213
; %bb.211:                              ;   in Loop: Header=BB7_145 Depth=1
	s_mov_b64 s[16:17], 0
.LBB7_212:                              ;   Parent Loop BB7_145 Depth=1
                                        ; =>  This Inner Loop Header: Depth=2
	s_sleep 1
	global_store_dwordx2 v[6:7], v[4:5], off
	v_mov_b32_e32 v2, s10
	v_mov_b32_e32 v3, s11
	s_waitcnt vmcnt(0)
	global_atomic_cmpswap_x2 v[2:3], v26, v[2:5], s[2:3] offset:32 glc
	s_waitcnt vmcnt(0)
	v_cmp_eq_u64_e32 vcc, v[2:3], v[4:5]
	v_mov_b32_e32 v5, v3
	s_or_b64 s[16:17], vcc, s[16:17]
	v_mov_b32_e32 v4, v2
	s_andn2_b64 exec, exec, s[16:17]
	s_cbranch_execnz .LBB7_212
.LBB7_213:                              ;   in Loop: Header=BB7_145 Depth=1
	s_or_b64 exec, exec, s[14:15]
	global_load_dwordx2 v[2:3], v26, s[2:3] offset:16
	s_mov_b64 s[16:17], exec
	v_mbcnt_lo_u32_b32 v4, s16, 0
	v_mbcnt_hi_u32_b32 v4, s17, v4
	v_cmp_eq_u32_e32 vcc, 0, v4
	s_and_saveexec_b64 s[14:15], vcc
	s_cbranch_execz .LBB7_215
; %bb.214:                              ;   in Loop: Header=BB7_145 Depth=1
	s_bcnt1_i32_b64 s16, s[16:17]
	v_mov_b32_e32 v25, s16
	s_waitcnt vmcnt(0)
	global_atomic_add_x2 v[2:3], v[25:26], off offset:8
.LBB7_215:                              ;   in Loop: Header=BB7_145 Depth=1
	s_or_b64 exec, exec, s[14:15]
	s_waitcnt vmcnt(0)
	global_load_dwordx2 v[4:5], v[2:3], off offset:16
	s_waitcnt vmcnt(0)
	v_cmp_eq_u64_e32 vcc, 0, v[4:5]
	s_cbranch_vccnz .LBB7_217
; %bb.216:                              ;   in Loop: Header=BB7_145 Depth=1
	global_load_dword v25, v[2:3], off offset:24
	s_waitcnt vmcnt(0)
	v_readfirstlane_b32 s14, v25
	s_and_b32 m0, s14, 0xffffff
	global_store_dwordx2 v[4:5], v[25:26], off
	s_sendmsg sendmsg(MSG_INTERRUPT)
.LBB7_217:                              ;   in Loop: Header=BB7_145 Depth=1
	s_or_b64 exec, exec, s[12:13]
	v_add_co_u32_e32 v2, vcc, v24, v30
	v_addc_co_u32_e32 v3, vcc, 0, v32, vcc
	s_branch .LBB7_221
.LBB7_218:                              ;   in Loop: Header=BB7_221 Depth=2
	s_or_b64 exec, exec, s[12:13]
	v_readfirstlane_b32 s12, v4
	s_cmp_eq_u32 s12, 0
	s_cbranch_scc1 .LBB7_220
; %bb.219:                              ;   in Loop: Header=BB7_221 Depth=2
	s_sleep 1
	s_cbranch_execnz .LBB7_221
	s_branch .LBB7_223
.LBB7_220:                              ;   in Loop: Header=BB7_145 Depth=1
	s_branch .LBB7_223
.LBB7_221:                              ;   Parent Loop BB7_145 Depth=1
                                        ; =>  This Inner Loop Header: Depth=2
	v_mov_b32_e32 v4, 1
	s_and_saveexec_b64 s[12:13], s[0:1]
	s_cbranch_execz .LBB7_218
; %bb.222:                              ;   in Loop: Header=BB7_221 Depth=2
	global_load_dword v4, v[27:28], off offset:20 glc
	s_waitcnt vmcnt(0)
	buffer_wbinvl1_vol
	v_and_b32_e32 v4, 1, v4
	s_branch .LBB7_218
.LBB7_223:                              ;   in Loop: Header=BB7_145 Depth=1
	global_load_dwordx2 v[2:3], v[2:3], off
	s_and_saveexec_b64 s[12:13], s[0:1]
	s_cbranch_execz .LBB7_144
; %bb.224:                              ;   in Loop: Header=BB7_145 Depth=1
	global_load_dwordx2 v[4:5], v26, s[2:3] offset:40
	global_load_dwordx2 v[14:15], v26, s[2:3] offset:24 glc
	global_load_dwordx2 v[6:7], v26, s[2:3]
	s_waitcnt vmcnt(2)
	v_readfirstlane_b32 s14, v4
	v_readfirstlane_b32 s15, v5
	s_add_u32 s16, s14, 1
	s_addc_u32 s17, s15, 0
	s_add_u32 s0, s16, s10
	s_addc_u32 s1, s17, s11
	s_cmp_eq_u64 s[0:1], 0
	s_cselect_b32 s1, s17, s1
	s_cselect_b32 s0, s16, s0
	s_and_b64 s[10:11], s[0:1], s[14:15]
	s_mul_i32 s11, s11, 24
	s_mul_hi_u32 s14, s10, 24
	s_mul_i32 s10, s10, 24
	s_add_i32 s11, s14, s11
	v_mov_b32_e32 v4, s11
	s_waitcnt vmcnt(0)
	v_add_co_u32_e32 v10, vcc, s10, v6
	v_addc_co_u32_e32 v11, vcc, v7, v4, vcc
	v_mov_b32_e32 v12, s0
	global_store_dwordx2 v[10:11], v[14:15], off
	v_mov_b32_e32 v13, s1
	s_waitcnt vmcnt(0)
	global_atomic_cmpswap_x2 v[6:7], v26, v[12:15], s[2:3] offset:24 glc
	s_waitcnt vmcnt(0)
	v_cmp_ne_u64_e32 vcc, v[6:7], v[14:15]
	s_and_b64 exec, exec, vcc
	s_cbranch_execz .LBB7_144
; %bb.225:                              ;   in Loop: Header=BB7_145 Depth=1
	s_mov_b64 s[10:11], 0
.LBB7_226:                              ;   Parent Loop BB7_145 Depth=1
                                        ; =>  This Inner Loop Header: Depth=2
	s_sleep 1
	global_store_dwordx2 v[10:11], v[6:7], off
	v_mov_b32_e32 v4, s0
	v_mov_b32_e32 v5, s1
	s_waitcnt vmcnt(0)
	global_atomic_cmpswap_x2 v[4:5], v26, v[4:7], s[2:3] offset:24 glc
	s_waitcnt vmcnt(0)
	v_cmp_eq_u64_e32 vcc, v[4:5], v[6:7]
	v_mov_b32_e32 v7, v5
	s_or_b64 s[10:11], vcc, s[10:11]
	v_mov_b32_e32 v6, v4
	s_andn2_b64 exec, exec, s[10:11]
	s_cbranch_execnz .LBB7_226
	s_branch .LBB7_144
.LBB7_227:
	s_branch .LBB7_255
.LBB7_228:
                                        ; implicit-def: $vgpr2_vgpr3
	s_cbranch_execz .LBB7_255
; %bb.229:
	v_readfirstlane_b32 s0, v31
	v_mov_b32_e32 v8, 0
	v_mov_b32_e32 v9, 0
	v_cmp_eq_u32_e64 s[0:1], s0, v31
	s_and_saveexec_b64 s[4:5], s[0:1]
	s_cbranch_execz .LBB7_235
; %bb.230:
	s_waitcnt vmcnt(0)
	v_mov_b32_e32 v2, 0
	global_load_dwordx2 v[5:6], v2, s[2:3] offset:24 glc
	s_waitcnt vmcnt(0)
	buffer_wbinvl1_vol
	global_load_dwordx2 v[3:4], v2, s[2:3] offset:40
	global_load_dwordx2 v[7:8], v2, s[2:3]
	s_waitcnt vmcnt(1)
	v_and_b32_e32 v3, v3, v5
	v_and_b32_e32 v4, v4, v6
	v_mul_lo_u32 v4, v4, 24
	v_mul_hi_u32 v9, v3, 24
	v_mul_lo_u32 v3, v3, 24
	v_add_u32_e32 v4, v9, v4
	s_waitcnt vmcnt(0)
	v_add_co_u32_e32 v3, vcc, v7, v3
	v_addc_co_u32_e32 v4, vcc, v8, v4, vcc
	global_load_dwordx2 v[3:4], v[3:4], off glc
	s_waitcnt vmcnt(0)
	global_atomic_cmpswap_x2 v[8:9], v2, v[3:6], s[2:3] offset:24 glc
	s_waitcnt vmcnt(0)
	buffer_wbinvl1_vol
	v_cmp_ne_u64_e32 vcc, v[8:9], v[5:6]
	s_and_saveexec_b64 s[6:7], vcc
	s_cbranch_execz .LBB7_234
; %bb.231:
	s_mov_b64 s[8:9], 0
.LBB7_232:                              ; =>This Inner Loop Header: Depth=1
	s_sleep 1
	global_load_dwordx2 v[3:4], v2, s[2:3] offset:40
	global_load_dwordx2 v[10:11], v2, s[2:3]
	v_mov_b32_e32 v5, v8
	v_mov_b32_e32 v6, v9
	s_waitcnt vmcnt(1)
	v_and_b32_e32 v3, v3, v5
	s_waitcnt vmcnt(0)
	v_mad_u64_u32 v[7:8], s[10:11], v3, 24, v[10:11]
	v_and_b32_e32 v4, v4, v6
	v_mov_b32_e32 v3, v8
	v_mad_u64_u32 v[3:4], s[10:11], v4, 24, v[3:4]
	v_mov_b32_e32 v8, v3
	global_load_dwordx2 v[3:4], v[7:8], off glc
	s_waitcnt vmcnt(0)
	global_atomic_cmpswap_x2 v[8:9], v2, v[3:6], s[2:3] offset:24 glc
	s_waitcnt vmcnt(0)
	buffer_wbinvl1_vol
	v_cmp_eq_u64_e32 vcc, v[8:9], v[5:6]
	s_or_b64 s[8:9], vcc, s[8:9]
	s_andn2_b64 exec, exec, s[8:9]
	s_cbranch_execnz .LBB7_232
; %bb.233:
	s_or_b64 exec, exec, s[8:9]
.LBB7_234:
	s_or_b64 exec, exec, s[6:7]
.LBB7_235:
	s_or_b64 exec, exec, s[4:5]
	s_waitcnt vmcnt(0)
	v_mov_b32_e32 v2, 0
	global_load_dwordx2 v[10:11], v2, s[2:3] offset:40
	global_load_dwordx4 v[4:7], v2, s[2:3]
	v_readfirstlane_b32 s5, v9
	v_readfirstlane_b32 s4, v8
	s_mov_b64 s[6:7], exec
	s_waitcnt vmcnt(1)
	v_readfirstlane_b32 s8, v10
	v_readfirstlane_b32 s9, v11
	s_and_b64 s[8:9], s[8:9], s[4:5]
	s_mul_i32 s10, s9, 24
	s_mul_hi_u32 s11, s8, 24
	s_mul_i32 s12, s8, 24
	s_add_i32 s10, s11, s10
	v_mov_b32_e32 v3, s10
	s_waitcnt vmcnt(0)
	v_add_co_u32_e32 v8, vcc, s12, v4
	v_addc_co_u32_e32 v9, vcc, v5, v3, vcc
	s_and_saveexec_b64 s[10:11], s[0:1]
	s_cbranch_execz .LBB7_237
; %bb.236:
	v_mov_b32_e32 v11, s7
	v_mov_b32_e32 v10, s6
	;; [unrolled: 1-line block ×4, first 2 shown]
	global_store_dwordx4 v[8:9], v[10:13], off offset:8
.LBB7_237:
	s_or_b64 exec, exec, s[10:11]
	s_lshl_b64 s[6:7], s[8:9], 12
	v_mov_b32_e32 v3, s7
	v_add_co_u32_e32 v10, vcc, s6, v6
	v_addc_co_u32_e32 v11, vcc, v7, v3, vcc
	s_movk_i32 s6, 0xff1f
	v_and_or_b32 v0, v0, s6, 32
	s_mov_b32 s8, 0
	v_mov_b32_e32 v3, v2
	v_readfirstlane_b32 s6, v10
	v_readfirstlane_b32 s7, v11
	v_add_co_u32_e32 v6, vcc, v10, v30
	s_mov_b32 s9, s8
	s_mov_b32 s10, s8
	;; [unrolled: 1-line block ×3, first 2 shown]
	s_nop 0
	global_store_dwordx4 v30, v[0:3], s[6:7]
	v_addc_co_u32_e32 v7, vcc, 0, v11, vcc
	v_mov_b32_e32 v0, s8
	v_mov_b32_e32 v1, s9
	v_mov_b32_e32 v2, s10
	v_mov_b32_e32 v3, s11
	global_store_dwordx4 v30, v[0:3], s[6:7] offset:16
	global_store_dwordx4 v30, v[0:3], s[6:7] offset:32
	;; [unrolled: 1-line block ×3, first 2 shown]
	s_and_saveexec_b64 s[6:7], s[0:1]
	s_cbranch_execz .LBB7_245
; %bb.238:
	v_mov_b32_e32 v10, 0
	global_load_dwordx2 v[13:14], v10, s[2:3] offset:32 glc
	global_load_dwordx2 v[0:1], v10, s[2:3] offset:40
	v_mov_b32_e32 v11, s4
	v_mov_b32_e32 v12, s5
	s_waitcnt vmcnt(0)
	v_readfirstlane_b32 s8, v0
	v_readfirstlane_b32 s9, v1
	s_and_b64 s[8:9], s[8:9], s[4:5]
	s_mul_i32 s9, s9, 24
	s_mul_hi_u32 s10, s8, 24
	s_mul_i32 s8, s8, 24
	s_add_i32 s9, s10, s9
	v_mov_b32_e32 v0, s9
	v_add_co_u32_e32 v4, vcc, s8, v4
	v_addc_co_u32_e32 v5, vcc, v5, v0, vcc
	global_store_dwordx2 v[4:5], v[13:14], off
	s_waitcnt vmcnt(0)
	global_atomic_cmpswap_x2 v[2:3], v10, v[11:14], s[2:3] offset:32 glc
	s_waitcnt vmcnt(0)
	v_cmp_ne_u64_e32 vcc, v[2:3], v[13:14]
	s_and_saveexec_b64 s[8:9], vcc
	s_cbranch_execz .LBB7_241
; %bb.239:
	s_mov_b64 s[10:11], 0
.LBB7_240:                              ; =>This Inner Loop Header: Depth=1
	s_sleep 1
	global_store_dwordx2 v[4:5], v[2:3], off
	v_mov_b32_e32 v0, s4
	v_mov_b32_e32 v1, s5
	s_waitcnt vmcnt(0)
	global_atomic_cmpswap_x2 v[0:1], v10, v[0:3], s[2:3] offset:32 glc
	s_waitcnt vmcnt(0)
	v_cmp_eq_u64_e32 vcc, v[0:1], v[2:3]
	v_mov_b32_e32 v3, v1
	s_or_b64 s[10:11], vcc, s[10:11]
	v_mov_b32_e32 v2, v0
	s_andn2_b64 exec, exec, s[10:11]
	s_cbranch_execnz .LBB7_240
.LBB7_241:
	s_or_b64 exec, exec, s[8:9]
	v_mov_b32_e32 v3, 0
	global_load_dwordx2 v[0:1], v3, s[2:3] offset:16
	s_mov_b64 s[8:9], exec
	v_mbcnt_lo_u32_b32 v2, s8, 0
	v_mbcnt_hi_u32_b32 v2, s9, v2
	v_cmp_eq_u32_e32 vcc, 0, v2
	s_and_saveexec_b64 s[10:11], vcc
	s_cbranch_execz .LBB7_243
; %bb.242:
	s_bcnt1_i32_b64 s8, s[8:9]
	v_mov_b32_e32 v2, s8
	s_waitcnt vmcnt(0)
	global_atomic_add_x2 v[0:1], v[2:3], off offset:8
.LBB7_243:
	s_or_b64 exec, exec, s[10:11]
	s_waitcnt vmcnt(0)
	global_load_dwordx2 v[2:3], v[0:1], off offset:16
	s_waitcnt vmcnt(0)
	v_cmp_eq_u64_e32 vcc, 0, v[2:3]
	s_cbranch_vccnz .LBB7_245
; %bb.244:
	global_load_dword v0, v[0:1], off offset:24
	v_mov_b32_e32 v1, 0
	s_waitcnt vmcnt(0)
	v_readfirstlane_b32 s8, v0
	s_and_b32 m0, s8, 0xffffff
	global_store_dwordx2 v[2:3], v[0:1], off
	s_sendmsg sendmsg(MSG_INTERRUPT)
.LBB7_245:
	s_or_b64 exec, exec, s[6:7]
	s_branch .LBB7_249
.LBB7_246:                              ;   in Loop: Header=BB7_249 Depth=1
	s_or_b64 exec, exec, s[6:7]
	v_readfirstlane_b32 s6, v0
	s_cmp_eq_u32 s6, 0
	s_cbranch_scc1 .LBB7_248
; %bb.247:                              ;   in Loop: Header=BB7_249 Depth=1
	s_sleep 1
	s_cbranch_execnz .LBB7_249
	s_branch .LBB7_251
.LBB7_248:
	s_branch .LBB7_251
.LBB7_249:                              ; =>This Inner Loop Header: Depth=1
	v_mov_b32_e32 v0, 1
	s_and_saveexec_b64 s[6:7], s[0:1]
	s_cbranch_execz .LBB7_246
; %bb.250:                              ;   in Loop: Header=BB7_249 Depth=1
	global_load_dword v0, v[8:9], off offset:20 glc
	s_waitcnt vmcnt(0)
	buffer_wbinvl1_vol
	v_and_b32_e32 v0, 1, v0
	s_branch .LBB7_246
.LBB7_251:
	global_load_dwordx2 v[2:3], v[6:7], off
	s_and_saveexec_b64 s[6:7], s[0:1]
	s_cbranch_execz .LBB7_254
; %bb.252:
	v_mov_b32_e32 v8, 0
	global_load_dwordx2 v[0:1], v8, s[2:3] offset:40
	global_load_dwordx2 v[11:12], v8, s[2:3] offset:24 glc
	global_load_dwordx2 v[4:5], v8, s[2:3]
	s_waitcnt vmcnt(2)
	v_readfirstlane_b32 s8, v0
	v_readfirstlane_b32 s9, v1
	s_add_u32 s10, s8, 1
	s_addc_u32 s11, s9, 0
	s_add_u32 s0, s10, s4
	s_addc_u32 s1, s11, s5
	s_cmp_eq_u64 s[0:1], 0
	s_cselect_b32 s1, s11, s1
	s_cselect_b32 s0, s10, s0
	s_and_b64 s[4:5], s[0:1], s[8:9]
	s_mul_i32 s5, s5, 24
	s_mul_hi_u32 s8, s4, 24
	s_mul_i32 s4, s4, 24
	s_add_i32 s5, s8, s5
	v_mov_b32_e32 v1, s5
	s_waitcnt vmcnt(0)
	v_add_co_u32_e32 v0, vcc, s4, v4
	v_addc_co_u32_e32 v1, vcc, v5, v1, vcc
	v_mov_b32_e32 v9, s0
	global_store_dwordx2 v[0:1], v[11:12], off
	v_mov_b32_e32 v10, s1
	s_waitcnt vmcnt(0)
	global_atomic_cmpswap_x2 v[6:7], v8, v[9:12], s[2:3] offset:24 glc
	s_mov_b64 s[4:5], 0
	s_waitcnt vmcnt(0)
	v_cmp_ne_u64_e32 vcc, v[6:7], v[11:12]
	s_and_b64 exec, exec, vcc
	s_cbranch_execz .LBB7_254
.LBB7_253:                              ; =>This Inner Loop Header: Depth=1
	s_sleep 1
	global_store_dwordx2 v[0:1], v[6:7], off
	v_mov_b32_e32 v4, s0
	v_mov_b32_e32 v5, s1
	s_waitcnt vmcnt(0)
	global_atomic_cmpswap_x2 v[4:5], v8, v[4:7], s[2:3] offset:24 glc
	s_waitcnt vmcnt(0)
	v_cmp_eq_u64_e32 vcc, v[4:5], v[6:7]
	v_mov_b32_e32 v7, v5
	s_or_b64 s[4:5], vcc, s[4:5]
	v_mov_b32_e32 v6, v4
	s_andn2_b64 exec, exec, s[4:5]
	s_cbranch_execnz .LBB7_253
.LBB7_254:
	s_or_b64 exec, exec, s[6:7]
.LBB7_255:
	v_readfirstlane_b32 s0, v31
	s_waitcnt vmcnt(0)
	v_mov_b32_e32 v0, 0
	v_mov_b32_e32 v1, 0
	v_cmp_eq_u32_e64 s[0:1], s0, v31
	s_and_saveexec_b64 s[4:5], s[0:1]
	s_cbranch_execz .LBB7_261
; %bb.256:
	v_mov_b32_e32 v4, 0
	global_load_dwordx2 v[7:8], v4, s[2:3] offset:24 glc
	s_waitcnt vmcnt(0)
	buffer_wbinvl1_vol
	global_load_dwordx2 v[0:1], v4, s[2:3] offset:40
	global_load_dwordx2 v[5:6], v4, s[2:3]
	s_waitcnt vmcnt(1)
	v_and_b32_e32 v0, v0, v7
	v_and_b32_e32 v1, v1, v8
	v_mul_lo_u32 v1, v1, 24
	v_mul_hi_u32 v9, v0, 24
	v_mul_lo_u32 v0, v0, 24
	v_add_u32_e32 v1, v9, v1
	s_waitcnt vmcnt(0)
	v_add_co_u32_e32 v0, vcc, v5, v0
	v_addc_co_u32_e32 v1, vcc, v6, v1, vcc
	global_load_dwordx2 v[5:6], v[0:1], off glc
	s_waitcnt vmcnt(0)
	global_atomic_cmpswap_x2 v[0:1], v4, v[5:8], s[2:3] offset:24 glc
	s_waitcnt vmcnt(0)
	buffer_wbinvl1_vol
	v_cmp_ne_u64_e32 vcc, v[0:1], v[7:8]
	s_and_saveexec_b64 s[6:7], vcc
	s_cbranch_execz .LBB7_260
; %bb.257:
	s_mov_b64 s[8:9], 0
.LBB7_258:                              ; =>This Inner Loop Header: Depth=1
	s_sleep 1
	global_load_dwordx2 v[5:6], v4, s[2:3] offset:40
	global_load_dwordx2 v[9:10], v4, s[2:3]
	v_mov_b32_e32 v8, v1
	v_mov_b32_e32 v7, v0
	s_waitcnt vmcnt(1)
	v_and_b32_e32 v0, v5, v7
	s_waitcnt vmcnt(0)
	v_mad_u64_u32 v[0:1], s[10:11], v0, 24, v[9:10]
	v_and_b32_e32 v5, v6, v8
	v_mad_u64_u32 v[5:6], s[10:11], v5, 24, v[1:2]
	v_mov_b32_e32 v1, v5
	global_load_dwordx2 v[5:6], v[0:1], off glc
	s_waitcnt vmcnt(0)
	global_atomic_cmpswap_x2 v[0:1], v4, v[5:8], s[2:3] offset:24 glc
	s_waitcnt vmcnt(0)
	buffer_wbinvl1_vol
	v_cmp_eq_u64_e32 vcc, v[0:1], v[7:8]
	s_or_b64 s[8:9], vcc, s[8:9]
	s_andn2_b64 exec, exec, s[8:9]
	s_cbranch_execnz .LBB7_258
; %bb.259:
	s_or_b64 exec, exec, s[8:9]
.LBB7_260:
	s_or_b64 exec, exec, s[6:7]
.LBB7_261:
	s_or_b64 exec, exec, s[4:5]
	v_mov_b32_e32 v5, 0
	global_load_dwordx2 v[10:11], v5, s[2:3] offset:40
	global_load_dwordx4 v[6:9], v5, s[2:3]
	v_readfirstlane_b32 s5, v1
	v_readfirstlane_b32 s4, v0
	s_mov_b64 s[6:7], exec
	s_waitcnt vmcnt(1)
	v_readfirstlane_b32 s8, v10
	v_readfirstlane_b32 s9, v11
	s_and_b64 s[8:9], s[8:9], s[4:5]
	s_mul_i32 s10, s9, 24
	s_mul_hi_u32 s11, s8, 24
	s_mul_i32 s12, s8, 24
	s_add_i32 s10, s11, s10
	v_mov_b32_e32 v0, s10
	s_waitcnt vmcnt(0)
	v_add_co_u32_e32 v10, vcc, s12, v6
	v_addc_co_u32_e32 v11, vcc, v7, v0, vcc
	s_and_saveexec_b64 s[10:11], s[0:1]
	s_cbranch_execz .LBB7_263
; %bb.262:
	v_mov_b32_e32 v13, s7
	v_mov_b32_e32 v12, s6
	;; [unrolled: 1-line block ×4, first 2 shown]
	global_store_dwordx4 v[10:11], v[12:15], off offset:8
.LBB7_263:
	s_or_b64 exec, exec, s[10:11]
	s_lshl_b64 s[6:7], s[8:9], 12
	v_mov_b32_e32 v0, s7
	v_add_co_u32_e32 v1, vcc, s6, v8
	v_addc_co_u32_e32 v0, vcc, v9, v0, vcc
	s_movk_i32 s6, 0xff1d
	v_and_or_b32 v2, v2, s6, 34
	v_mov_b32_e32 v4, v29
	v_readfirstlane_b32 s6, v1
	v_readfirstlane_b32 s7, v0
	s_mov_b32 s8, 0
	s_mov_b32 s9, s8
	;; [unrolled: 1-line block ×4, first 2 shown]
	s_nop 0
	global_store_dwordx4 v30, v[2:5], s[6:7]
	v_mov_b32_e32 v0, s8
	v_mov_b32_e32 v1, s9
	;; [unrolled: 1-line block ×4, first 2 shown]
	global_store_dwordx4 v30, v[0:3], s[6:7] offset:16
	global_store_dwordx4 v30, v[0:3], s[6:7] offset:32
	;; [unrolled: 1-line block ×3, first 2 shown]
	s_and_saveexec_b64 s[6:7], s[0:1]
	s_cbranch_execz .LBB7_271
; %bb.264:
	v_mov_b32_e32 v8, 0
	global_load_dwordx2 v[14:15], v8, s[2:3] offset:32 glc
	global_load_dwordx2 v[0:1], v8, s[2:3] offset:40
	v_mov_b32_e32 v12, s4
	v_mov_b32_e32 v13, s5
	s_waitcnt vmcnt(0)
	v_readfirstlane_b32 s8, v0
	v_readfirstlane_b32 s9, v1
	s_and_b64 s[8:9], s[8:9], s[4:5]
	s_mul_i32 s9, s9, 24
	s_mul_hi_u32 s10, s8, 24
	s_mul_i32 s8, s8, 24
	s_add_i32 s9, s10, s9
	v_mov_b32_e32 v0, s9
	v_add_co_u32_e32 v4, vcc, s8, v6
	v_addc_co_u32_e32 v5, vcc, v7, v0, vcc
	global_store_dwordx2 v[4:5], v[14:15], off
	s_waitcnt vmcnt(0)
	global_atomic_cmpswap_x2 v[2:3], v8, v[12:15], s[2:3] offset:32 glc
	s_waitcnt vmcnt(0)
	v_cmp_ne_u64_e32 vcc, v[2:3], v[14:15]
	s_and_saveexec_b64 s[8:9], vcc
	s_cbranch_execz .LBB7_267
; %bb.265:
	s_mov_b64 s[10:11], 0
.LBB7_266:                              ; =>This Inner Loop Header: Depth=1
	s_sleep 1
	global_store_dwordx2 v[4:5], v[2:3], off
	v_mov_b32_e32 v0, s4
	v_mov_b32_e32 v1, s5
	s_waitcnt vmcnt(0)
	global_atomic_cmpswap_x2 v[0:1], v8, v[0:3], s[2:3] offset:32 glc
	s_waitcnt vmcnt(0)
	v_cmp_eq_u64_e32 vcc, v[0:1], v[2:3]
	v_mov_b32_e32 v3, v1
	s_or_b64 s[10:11], vcc, s[10:11]
	v_mov_b32_e32 v2, v0
	s_andn2_b64 exec, exec, s[10:11]
	s_cbranch_execnz .LBB7_266
.LBB7_267:
	s_or_b64 exec, exec, s[8:9]
	v_mov_b32_e32 v3, 0
	global_load_dwordx2 v[0:1], v3, s[2:3] offset:16
	s_mov_b64 s[8:9], exec
	v_mbcnt_lo_u32_b32 v2, s8, 0
	v_mbcnt_hi_u32_b32 v2, s9, v2
	v_cmp_eq_u32_e32 vcc, 0, v2
	s_and_saveexec_b64 s[10:11], vcc
	s_cbranch_execz .LBB7_269
; %bb.268:
	s_bcnt1_i32_b64 s8, s[8:9]
	v_mov_b32_e32 v2, s8
	s_waitcnt vmcnt(0)
	global_atomic_add_x2 v[0:1], v[2:3], off offset:8
.LBB7_269:
	s_or_b64 exec, exec, s[10:11]
	s_waitcnt vmcnt(0)
	global_load_dwordx2 v[2:3], v[0:1], off offset:16
	s_waitcnt vmcnt(0)
	v_cmp_eq_u64_e32 vcc, 0, v[2:3]
	s_cbranch_vccnz .LBB7_271
; %bb.270:
	global_load_dword v0, v[0:1], off offset:24
	v_mov_b32_e32 v1, 0
	s_waitcnt vmcnt(0)
	v_readfirstlane_b32 s8, v0
	s_and_b32 m0, s8, 0xffffff
	global_store_dwordx2 v[2:3], v[0:1], off
	s_sendmsg sendmsg(MSG_INTERRUPT)
.LBB7_271:
	s_or_b64 exec, exec, s[6:7]
	s_branch .LBB7_275
.LBB7_272:                              ;   in Loop: Header=BB7_275 Depth=1
	s_or_b64 exec, exec, s[6:7]
	v_readfirstlane_b32 s6, v0
	s_cmp_eq_u32 s6, 0
	s_cbranch_scc1 .LBB7_274
; %bb.273:                              ;   in Loop: Header=BB7_275 Depth=1
	s_sleep 1
	s_cbranch_execnz .LBB7_275
	s_branch .LBB7_277
.LBB7_274:
	s_branch .LBB7_277
.LBB7_275:                              ; =>This Inner Loop Header: Depth=1
	v_mov_b32_e32 v0, 1
	s_and_saveexec_b64 s[6:7], s[0:1]
	s_cbranch_execz .LBB7_272
; %bb.276:                              ;   in Loop: Header=BB7_275 Depth=1
	global_load_dword v0, v[10:11], off offset:20 glc
	s_waitcnt vmcnt(0)
	buffer_wbinvl1_vol
	v_and_b32_e32 v0, 1, v0
	s_branch .LBB7_272
.LBB7_277:
	s_and_saveexec_b64 s[6:7], s[0:1]
	s_cbranch_execz .LBB7_280
; %bb.278:
	v_mov_b32_e32 v6, 0
	global_load_dwordx2 v[0:1], v6, s[2:3] offset:40
	global_load_dwordx2 v[9:10], v6, s[2:3] offset:24 glc
	global_load_dwordx2 v[2:3], v6, s[2:3]
	s_waitcnt vmcnt(2)
	v_readfirstlane_b32 s6, v0
	v_readfirstlane_b32 s7, v1
	s_add_u32 s8, s6, 1
	s_addc_u32 s9, s7, 0
	s_add_u32 s0, s8, s4
	s_addc_u32 s1, s9, s5
	s_cmp_eq_u64 s[0:1], 0
	s_cselect_b32 s1, s9, s1
	s_cselect_b32 s0, s8, s0
	s_and_b64 s[4:5], s[0:1], s[6:7]
	s_mul_i32 s5, s5, 24
	s_mul_hi_u32 s6, s4, 24
	s_mul_i32 s4, s4, 24
	s_add_i32 s5, s6, s5
	v_mov_b32_e32 v0, s5
	s_waitcnt vmcnt(0)
	v_add_co_u32_e32 v4, vcc, s4, v2
	v_addc_co_u32_e32 v5, vcc, v3, v0, vcc
	v_mov_b32_e32 v7, s0
	global_store_dwordx2 v[4:5], v[9:10], off
	v_mov_b32_e32 v8, s1
	s_waitcnt vmcnt(0)
	global_atomic_cmpswap_x2 v[2:3], v6, v[7:10], s[2:3] offset:24 glc
	s_mov_b64 s[4:5], 0
	s_waitcnt vmcnt(0)
	v_cmp_ne_u64_e32 vcc, v[2:3], v[9:10]
	s_and_b64 exec, exec, vcc
	s_cbranch_execz .LBB7_280
.LBB7_279:                              ; =>This Inner Loop Header: Depth=1
	s_sleep 1
	global_store_dwordx2 v[4:5], v[2:3], off
	v_mov_b32_e32 v0, s0
	v_mov_b32_e32 v1, s1
	s_waitcnt vmcnt(0)
	global_atomic_cmpswap_x2 v[0:1], v6, v[0:3], s[2:3] offset:24 glc
	s_waitcnt vmcnt(0)
	v_cmp_eq_u64_e32 vcc, v[0:1], v[2:3]
	v_mov_b32_e32 v3, v1
	s_or_b64 s[4:5], vcc, s[4:5]
	v_mov_b32_e32 v2, v0
	s_andn2_b64 exec, exec, s[4:5]
	s_cbranch_execnz .LBB7_279
.LBB7_280:
	s_endpgm
	.section	.rodata,"a",@progbits
	.p2align	6, 0x0
	.amdhsa_kernel _ZN19hipPrintfStressTest17kernel_shared_memEv
		.amdhsa_group_segment_fixed_size 4
		.amdhsa_private_segment_fixed_size 0
		.amdhsa_kernarg_size 256
		.amdhsa_user_sgpr_count 6
		.amdhsa_user_sgpr_private_segment_buffer 1
		.amdhsa_user_sgpr_dispatch_ptr 0
		.amdhsa_user_sgpr_queue_ptr 0
		.amdhsa_user_sgpr_kernarg_segment_ptr 1
		.amdhsa_user_sgpr_dispatch_id 0
		.amdhsa_user_sgpr_flat_scratch_init 0
		.amdhsa_user_sgpr_private_segment_size 0
		.amdhsa_uses_dynamic_stack 0
		.amdhsa_system_sgpr_private_segment_wavefront_offset 0
		.amdhsa_system_sgpr_workgroup_id_x 1
		.amdhsa_system_sgpr_workgroup_id_y 0
		.amdhsa_system_sgpr_workgroup_id_z 0
		.amdhsa_system_sgpr_workgroup_info 0
		.amdhsa_system_vgpr_workitem_id 0
		.amdhsa_next_free_vgpr 33
		.amdhsa_next_free_sgpr 19
		.amdhsa_reserve_vcc 1
		.amdhsa_reserve_flat_scratch 0
		.amdhsa_float_round_mode_32 0
		.amdhsa_float_round_mode_16_64 0
		.amdhsa_float_denorm_mode_32 3
		.amdhsa_float_denorm_mode_16_64 3
		.amdhsa_dx10_clamp 1
		.amdhsa_ieee_mode 1
		.amdhsa_fp16_overflow 0
		.amdhsa_exception_fp_ieee_invalid_op 0
		.amdhsa_exception_fp_denorm_src 0
		.amdhsa_exception_fp_ieee_div_zero 0
		.amdhsa_exception_fp_ieee_overflow 0
		.amdhsa_exception_fp_ieee_underflow 0
		.amdhsa_exception_fp_ieee_inexact 0
		.amdhsa_exception_int_div_zero 0
	.end_amdhsa_kernel
	.text
.Lfunc_end7:
	.size	_ZN19hipPrintfStressTest17kernel_shared_memEv, .Lfunc_end7-_ZN19hipPrintfStressTest17kernel_shared_memEv
                                        ; -- End function
	.set _ZN19hipPrintfStressTest17kernel_shared_memEv.num_vgpr, 33
	.set _ZN19hipPrintfStressTest17kernel_shared_memEv.num_agpr, 0
	.set _ZN19hipPrintfStressTest17kernel_shared_memEv.numbered_sgpr, 19
	.set _ZN19hipPrintfStressTest17kernel_shared_memEv.num_named_barrier, 0
	.set _ZN19hipPrintfStressTest17kernel_shared_memEv.private_seg_size, 0
	.set _ZN19hipPrintfStressTest17kernel_shared_memEv.uses_vcc, 1
	.set _ZN19hipPrintfStressTest17kernel_shared_memEv.uses_flat_scratch, 0
	.set _ZN19hipPrintfStressTest17kernel_shared_memEv.has_dyn_sized_stack, 0
	.set _ZN19hipPrintfStressTest17kernel_shared_memEv.has_recursion, 0
	.set _ZN19hipPrintfStressTest17kernel_shared_memEv.has_indirect_call, 0
	.section	.AMDGPU.csdata,"",@progbits
; Kernel info:
; codeLenInByte = 9332
; TotalNumSgprs: 23
; NumVgprs: 33
; ScratchSize: 0
; MemoryBound: 0
; FloatMode: 240
; IeeeMode: 1
; LDSByteSize: 4 bytes/workgroup (compile time only)
; SGPRBlocks: 2
; VGPRBlocks: 8
; NumSGPRsForWavesPerEU: 23
; NumVGPRsForWavesPerEU: 33
; Occupancy: 7
; WaveLimiterHint : 1
; COMPUTE_PGM_RSRC2:SCRATCH_EN: 0
; COMPUTE_PGM_RSRC2:USER_SGPR: 6
; COMPUTE_PGM_RSRC2:TRAP_HANDLER: 0
; COMPUTE_PGM_RSRC2:TGID_X_EN: 1
; COMPUTE_PGM_RSRC2:TGID_Y_EN: 0
; COMPUTE_PGM_RSRC2:TGID_Z_EN: 0
; COMPUTE_PGM_RSRC2:TIDIG_COMP_CNT: 0
	.text
	.protected	_ZN19hipPrintfStressTest26kernel_synchronized_printfEv ; -- Begin function _ZN19hipPrintfStressTest26kernel_synchronized_printfEv
	.globl	_ZN19hipPrintfStressTest26kernel_synchronized_printfEv
	.p2align	8
	.type	_ZN19hipPrintfStressTest26kernel_synchronized_printfEv,@function
_ZN19hipPrintfStressTest26kernel_synchronized_printfEv: ; @_ZN19hipPrintfStressTest26kernel_synchronized_printfEv
; %bb.0:
	s_load_dwordx2 s[2:3], s[4:5], 0x50
	v_mbcnt_lo_u32_b32 v0, -1, 0
	v_mbcnt_hi_u32_b32 v30, -1, v0
	v_readfirstlane_b32 s0, v30
	v_mov_b32_e32 v5, 0
	v_mov_b32_e32 v6, 0
	v_cmp_eq_u32_e64 s[0:1], s0, v30
	s_and_saveexec_b64 s[4:5], s[0:1]
	s_cbranch_execz .LBB8_6
; %bb.1:
	v_mov_b32_e32 v0, 0
	s_waitcnt lgkmcnt(0)
	global_load_dwordx2 v[3:4], v0, s[2:3] offset:24 glc
	s_waitcnt vmcnt(0)
	buffer_wbinvl1_vol
	global_load_dwordx2 v[1:2], v0, s[2:3] offset:40
	global_load_dwordx2 v[5:6], v0, s[2:3]
	s_waitcnt vmcnt(1)
	v_and_b32_e32 v1, v1, v3
	v_and_b32_e32 v2, v2, v4
	v_mul_lo_u32 v2, v2, 24
	v_mul_hi_u32 v7, v1, 24
	v_mul_lo_u32 v1, v1, 24
	v_add_u32_e32 v2, v7, v2
	s_waitcnt vmcnt(0)
	v_add_co_u32_e32 v1, vcc, v5, v1
	v_addc_co_u32_e32 v2, vcc, v6, v2, vcc
	global_load_dwordx2 v[1:2], v[1:2], off glc
	s_waitcnt vmcnt(0)
	global_atomic_cmpswap_x2 v[5:6], v0, v[1:4], s[2:3] offset:24 glc
	s_waitcnt vmcnt(0)
	buffer_wbinvl1_vol
	v_cmp_ne_u64_e32 vcc, v[5:6], v[3:4]
	s_and_saveexec_b64 s[6:7], vcc
	s_cbranch_execz .LBB8_5
; %bb.2:
	s_mov_b64 s[8:9], 0
.LBB8_3:                                ; =>This Inner Loop Header: Depth=1
	s_sleep 1
	global_load_dwordx2 v[1:2], v0, s[2:3] offset:40
	global_load_dwordx2 v[7:8], v0, s[2:3]
	v_mov_b32_e32 v3, v5
	v_mov_b32_e32 v4, v6
	s_waitcnt vmcnt(1)
	v_and_b32_e32 v1, v1, v3
	s_waitcnt vmcnt(0)
	v_mad_u64_u32 v[5:6], s[10:11], v1, 24, v[7:8]
	v_and_b32_e32 v2, v2, v4
	v_mov_b32_e32 v1, v6
	v_mad_u64_u32 v[1:2], s[10:11], v2, 24, v[1:2]
	v_mov_b32_e32 v6, v1
	global_load_dwordx2 v[1:2], v[5:6], off glc
	s_waitcnt vmcnt(0)
	global_atomic_cmpswap_x2 v[5:6], v0, v[1:4], s[2:3] offset:24 glc
	s_waitcnt vmcnt(0)
	buffer_wbinvl1_vol
	v_cmp_eq_u64_e32 vcc, v[5:6], v[3:4]
	s_or_b64 s[8:9], vcc, s[8:9]
	s_andn2_b64 exec, exec, s[8:9]
	s_cbranch_execnz .LBB8_3
; %bb.4:
	s_or_b64 exec, exec, s[8:9]
.LBB8_5:
	s_or_b64 exec, exec, s[6:7]
.LBB8_6:
	s_or_b64 exec, exec, s[4:5]
	v_mov_b32_e32 v4, 0
	s_waitcnt lgkmcnt(0)
	global_load_dwordx2 v[7:8], v4, s[2:3] offset:40
	global_load_dwordx4 v[0:3], v4, s[2:3]
	v_readfirstlane_b32 s5, v6
	v_readfirstlane_b32 s4, v5
	s_mov_b64 s[6:7], exec
	s_waitcnt vmcnt(1)
	v_readfirstlane_b32 s8, v7
	v_readfirstlane_b32 s9, v8
	s_and_b64 s[8:9], s[8:9], s[4:5]
	s_mul_i32 s10, s9, 24
	s_mul_hi_u32 s11, s8, 24
	s_mul_i32 s12, s8, 24
	s_add_i32 s10, s11, s10
	v_mov_b32_e32 v5, s10
	s_waitcnt vmcnt(0)
	v_add_co_u32_e32 v7, vcc, s12, v0
	v_addc_co_u32_e32 v8, vcc, v1, v5, vcc
	s_and_saveexec_b64 s[10:11], s[0:1]
	s_cbranch_execz .LBB8_8
; %bb.7:
	v_mov_b32_e32 v10, s7
	v_mov_b32_e32 v9, s6
	;; [unrolled: 1-line block ×4, first 2 shown]
	global_store_dwordx4 v[7:8], v[9:12], off offset:8
.LBB8_8:
	s_or_b64 exec, exec, s[10:11]
	s_lshl_b64 s[6:7], s[8:9], 12
	v_mov_b32_e32 v5, s7
	v_add_co_u32_e32 v2, vcc, s6, v2
	v_addc_co_u32_e32 v11, vcc, v3, v5, vcc
	v_lshlrev_b32_e32 v29, 6, v30
	s_mov_b32 s8, 0
	v_mov_b32_e32 v3, 33
	v_mov_b32_e32 v5, v4
	;; [unrolled: 1-line block ×3, first 2 shown]
	v_readfirstlane_b32 s6, v2
	v_readfirstlane_b32 s7, v11
	v_add_co_u32_e32 v9, vcc, v2, v29
	s_mov_b32 s9, s8
	s_mov_b32 s10, s8
	;; [unrolled: 1-line block ×3, first 2 shown]
	s_nop 0
	global_store_dwordx4 v29, v[3:6], s[6:7]
	v_mov_b32_e32 v2, s8
	v_addc_co_u32_e32 v10, vcc, 0, v11, vcc
	v_mov_b32_e32 v3, s9
	v_mov_b32_e32 v4, s10
	v_mov_b32_e32 v5, s11
	global_store_dwordx4 v29, v[2:5], s[6:7] offset:16
	global_store_dwordx4 v29, v[2:5], s[6:7] offset:32
	;; [unrolled: 1-line block ×3, first 2 shown]
	s_and_saveexec_b64 s[6:7], s[0:1]
	s_cbranch_execz .LBB8_16
; %bb.9:
	v_mov_b32_e32 v6, 0
	global_load_dwordx2 v[13:14], v6, s[2:3] offset:32 glc
	global_load_dwordx2 v[2:3], v6, s[2:3] offset:40
	v_mov_b32_e32 v11, s4
	v_mov_b32_e32 v12, s5
	s_waitcnt vmcnt(0)
	v_and_b32_e32 v2, s4, v2
	v_and_b32_e32 v3, s5, v3
	v_mul_lo_u32 v3, v3, 24
	v_mul_hi_u32 v4, v2, 24
	v_mul_lo_u32 v2, v2, 24
	v_add_u32_e32 v3, v4, v3
	v_add_co_u32_e32 v4, vcc, v0, v2
	v_addc_co_u32_e32 v5, vcc, v1, v3, vcc
	global_store_dwordx2 v[4:5], v[13:14], off
	s_waitcnt vmcnt(0)
	global_atomic_cmpswap_x2 v[2:3], v6, v[11:14], s[2:3] offset:32 glc
	s_waitcnt vmcnt(0)
	v_cmp_ne_u64_e32 vcc, v[2:3], v[13:14]
	s_and_saveexec_b64 s[8:9], vcc
	s_cbranch_execz .LBB8_12
; %bb.10:
	s_mov_b64 s[10:11], 0
.LBB8_11:                               ; =>This Inner Loop Header: Depth=1
	s_sleep 1
	global_store_dwordx2 v[4:5], v[2:3], off
	v_mov_b32_e32 v0, s4
	v_mov_b32_e32 v1, s5
	s_waitcnt vmcnt(0)
	global_atomic_cmpswap_x2 v[0:1], v6, v[0:3], s[2:3] offset:32 glc
	s_waitcnt vmcnt(0)
	v_cmp_eq_u64_e32 vcc, v[0:1], v[2:3]
	v_mov_b32_e32 v3, v1
	s_or_b64 s[10:11], vcc, s[10:11]
	v_mov_b32_e32 v2, v0
	s_andn2_b64 exec, exec, s[10:11]
	s_cbranch_execnz .LBB8_11
.LBB8_12:
	s_or_b64 exec, exec, s[8:9]
	v_mov_b32_e32 v3, 0
	global_load_dwordx2 v[0:1], v3, s[2:3] offset:16
	s_mov_b64 s[8:9], exec
	v_mbcnt_lo_u32_b32 v2, s8, 0
	v_mbcnt_hi_u32_b32 v2, s9, v2
	v_cmp_eq_u32_e32 vcc, 0, v2
	s_and_saveexec_b64 s[10:11], vcc
	s_cbranch_execz .LBB8_14
; %bb.13:
	s_bcnt1_i32_b64 s8, s[8:9]
	v_mov_b32_e32 v2, s8
	s_waitcnt vmcnt(0)
	global_atomic_add_x2 v[0:1], v[2:3], off offset:8
.LBB8_14:
	s_or_b64 exec, exec, s[10:11]
	s_waitcnt vmcnt(0)
	global_load_dwordx2 v[2:3], v[0:1], off offset:16
	s_waitcnt vmcnt(0)
	v_cmp_eq_u64_e32 vcc, 0, v[2:3]
	s_cbranch_vccnz .LBB8_16
; %bb.15:
	global_load_dword v0, v[0:1], off offset:24
	v_mov_b32_e32 v1, 0
	s_waitcnt vmcnt(0)
	v_readfirstlane_b32 s8, v0
	s_and_b32 m0, s8, 0xffffff
	global_store_dwordx2 v[2:3], v[0:1], off
	s_sendmsg sendmsg(MSG_INTERRUPT)
.LBB8_16:
	s_or_b64 exec, exec, s[6:7]
	s_branch .LBB8_20
.LBB8_17:                               ;   in Loop: Header=BB8_20 Depth=1
	s_or_b64 exec, exec, s[6:7]
	v_readfirstlane_b32 s6, v0
	s_cmp_eq_u32 s6, 0
	s_cbranch_scc1 .LBB8_19
; %bb.18:                               ;   in Loop: Header=BB8_20 Depth=1
	s_sleep 1
	s_cbranch_execnz .LBB8_20
	s_branch .LBB8_22
.LBB8_19:
	s_branch .LBB8_22
.LBB8_20:                               ; =>This Inner Loop Header: Depth=1
	v_mov_b32_e32 v0, 1
	s_and_saveexec_b64 s[6:7], s[0:1]
	s_cbranch_execz .LBB8_17
; %bb.21:                               ;   in Loop: Header=BB8_20 Depth=1
	global_load_dword v0, v[7:8], off offset:20 glc
	s_waitcnt vmcnt(0)
	buffer_wbinvl1_vol
	v_and_b32_e32 v0, 1, v0
	s_branch .LBB8_17
.LBB8_22:
	global_load_dwordx2 v[4:5], v[9:10], off
	s_and_saveexec_b64 s[6:7], s[0:1]
	s_cbranch_execz .LBB8_25
; %bb.23:
	v_mov_b32_e32 v8, 0
	global_load_dwordx2 v[0:1], v8, s[2:3] offset:40
	global_load_dwordx2 v[11:12], v8, s[2:3] offset:24 glc
	global_load_dwordx2 v[2:3], v8, s[2:3]
	s_waitcnt vmcnt(2)
	v_readfirstlane_b32 s8, v0
	v_readfirstlane_b32 s9, v1
	s_add_u32 s10, s8, 1
	s_addc_u32 s11, s9, 0
	s_add_u32 s0, s10, s4
	s_addc_u32 s1, s11, s5
	s_cmp_eq_u64 s[0:1], 0
	s_cselect_b32 s1, s11, s1
	s_cselect_b32 s0, s10, s0
	s_and_b64 s[4:5], s[0:1], s[8:9]
	s_mul_i32 s5, s5, 24
	s_mul_hi_u32 s8, s4, 24
	s_mul_i32 s4, s4, 24
	s_add_i32 s5, s8, s5
	v_mov_b32_e32 v0, s5
	s_waitcnt vmcnt(0)
	v_add_co_u32_e32 v6, vcc, s4, v2
	v_addc_co_u32_e32 v7, vcc, v3, v0, vcc
	v_mov_b32_e32 v9, s0
	global_store_dwordx2 v[6:7], v[11:12], off
	v_mov_b32_e32 v10, s1
	s_waitcnt vmcnt(0)
	global_atomic_cmpswap_x2 v[2:3], v8, v[9:12], s[2:3] offset:24 glc
	s_mov_b64 s[4:5], 0
	s_waitcnt vmcnt(0)
	v_cmp_ne_u64_e32 vcc, v[2:3], v[11:12]
	s_and_b64 exec, exec, vcc
	s_cbranch_execz .LBB8_25
.LBB8_24:                               ; =>This Inner Loop Header: Depth=1
	s_sleep 1
	global_store_dwordx2 v[6:7], v[2:3], off
	v_mov_b32_e32 v0, s0
	v_mov_b32_e32 v1, s1
	s_waitcnt vmcnt(0)
	global_atomic_cmpswap_x2 v[0:1], v8, v[0:3], s[2:3] offset:24 glc
	s_waitcnt vmcnt(0)
	v_cmp_eq_u64_e32 vcc, v[0:1], v[2:3]
	v_mov_b32_e32 v3, v1
	s_or_b64 s[4:5], vcc, s[4:5]
	v_mov_b32_e32 v2, v0
	s_andn2_b64 exec, exec, s[4:5]
	s_cbranch_execnz .LBB8_24
.LBB8_25:
	s_or_b64 exec, exec, s[6:7]
	s_getpc_b64 s[6:7]
	s_add_u32 s6, s6, .str.7@rel32@lo+4
	s_addc_u32 s7, s7, .str.7@rel32@hi+12
	s_cmp_lg_u64 s[6:7], 0
	s_cselect_b64 s[4:5], -1, 0
	s_and_b64 vcc, exec, s[4:5]
	s_cbranch_vccz .LBB8_111
; %bb.26:
	s_waitcnt vmcnt(0)
	v_and_b32_e32 v31, 2, v4
	v_mov_b32_e32 v26, 0
	v_and_b32_e32 v0, -3, v4
	v_mov_b32_e32 v1, v5
	s_mov_b64 s[8:9], 6
	v_mov_b32_e32 v8, 2
	v_mov_b32_e32 v9, 1
	s_branch .LBB8_28
.LBB8_27:                               ;   in Loop: Header=BB8_28 Depth=1
	s_or_b64 exec, exec, s[14:15]
	s_sub_u32 s8, s8, s10
	s_subb_u32 s9, s9, s11
	s_add_u32 s6, s6, s10
	s_addc_u32 s7, s7, s11
	s_cmp_lg_u64 s[8:9], 0
	s_cbranch_scc0 .LBB8_110
.LBB8_28:                               ; =>This Loop Header: Depth=1
                                        ;     Child Loop BB8_31 Depth 2
                                        ;     Child Loop BB8_39 Depth 2
	;; [unrolled: 1-line block ×11, first 2 shown]
	v_cmp_lt_u64_e64 s[0:1], s[8:9], 56
	v_cmp_gt_u64_e64 s[12:13], s[8:9], 7
	s_and_b64 s[0:1], s[0:1], exec
	s_cselect_b32 s11, s9, 0
	s_cselect_b32 s10, s8, 56
	s_add_u32 s0, s6, 8
	s_addc_u32 s1, s7, 0
	s_and_b64 vcc, exec, s[12:13]
	s_cbranch_vccnz .LBB8_32
; %bb.29:                               ;   in Loop: Header=BB8_28 Depth=1
	s_cmp_eq_u64 s[8:9], 0
	s_cbranch_scc1 .LBB8_33
; %bb.30:                               ;   in Loop: Header=BB8_28 Depth=1
	v_mov_b32_e32 v2, 0
	s_lshl_b64 s[0:1], s[10:11], 3
	s_mov_b64 s[12:13], 0
	v_mov_b32_e32 v3, 0
	s_mov_b64 s[14:15], s[6:7]
.LBB8_31:                               ;   Parent Loop BB8_28 Depth=1
                                        ; =>  This Inner Loop Header: Depth=2
	global_load_ubyte v6, v26, s[14:15]
	s_waitcnt vmcnt(0)
	v_and_b32_e32 v25, 0xffff, v6
	v_lshlrev_b64 v[6:7], s12, v[25:26]
	s_add_u32 s12, s12, 8
	s_addc_u32 s13, s13, 0
	s_add_u32 s14, s14, 1
	s_addc_u32 s15, s15, 0
	v_or_b32_e32 v2, v6, v2
	s_cmp_lg_u32 s0, s12
	v_or_b32_e32 v3, v7, v3
	s_cbranch_scc1 .LBB8_31
	s_branch .LBB8_34
.LBB8_32:                               ;   in Loop: Header=BB8_28 Depth=1
	s_mov_b32 s16, 0
	s_branch .LBB8_35
.LBB8_33:                               ;   in Loop: Header=BB8_28 Depth=1
	v_mov_b32_e32 v2, 0
	v_mov_b32_e32 v3, 0
.LBB8_34:                               ;   in Loop: Header=BB8_28 Depth=1
	s_mov_b64 s[0:1], s[6:7]
	s_mov_b32 s16, 0
	s_cbranch_execnz .LBB8_36
.LBB8_35:                               ;   in Loop: Header=BB8_28 Depth=1
	global_load_dwordx2 v[2:3], v26, s[6:7]
	s_add_i32 s16, s10, -8
.LBB8_36:                               ;   in Loop: Header=BB8_28 Depth=1
	s_add_u32 s12, s0, 8
	s_addc_u32 s13, s1, 0
	s_cmp_gt_u32 s16, 7
	s_cbranch_scc1 .LBB8_40
; %bb.37:                               ;   in Loop: Header=BB8_28 Depth=1
	s_cmp_eq_u32 s16, 0
	s_cbranch_scc1 .LBB8_41
; %bb.38:                               ;   in Loop: Header=BB8_28 Depth=1
	v_mov_b32_e32 v10, 0
	s_mov_b64 s[12:13], 0
	v_mov_b32_e32 v11, 0
	s_mov_b64 s[14:15], 0
.LBB8_39:                               ;   Parent Loop BB8_28 Depth=1
                                        ; =>  This Inner Loop Header: Depth=2
	s_add_u32 s18, s0, s14
	s_addc_u32 s19, s1, s15
	global_load_ubyte v6, v26, s[18:19]
	s_add_u32 s14, s14, 1
	s_addc_u32 s15, s15, 0
	s_waitcnt vmcnt(0)
	v_and_b32_e32 v25, 0xffff, v6
	v_lshlrev_b64 v[6:7], s12, v[25:26]
	s_add_u32 s12, s12, 8
	s_addc_u32 s13, s13, 0
	v_or_b32_e32 v10, v6, v10
	s_cmp_lg_u32 s16, s14
	v_or_b32_e32 v11, v7, v11
	s_cbranch_scc1 .LBB8_39
	s_branch .LBB8_42
.LBB8_40:                               ;   in Loop: Header=BB8_28 Depth=1
                                        ; implicit-def: $vgpr10_vgpr11
	s_mov_b32 s17, 0
	s_branch .LBB8_43
.LBB8_41:                               ;   in Loop: Header=BB8_28 Depth=1
	v_mov_b32_e32 v10, 0
	v_mov_b32_e32 v11, 0
.LBB8_42:                               ;   in Loop: Header=BB8_28 Depth=1
	s_mov_b64 s[12:13], s[0:1]
	s_mov_b32 s17, 0
	s_cbranch_execnz .LBB8_44
.LBB8_43:                               ;   in Loop: Header=BB8_28 Depth=1
	global_load_dwordx2 v[10:11], v26, s[0:1]
	s_add_i32 s17, s16, -8
.LBB8_44:                               ;   in Loop: Header=BB8_28 Depth=1
	s_add_u32 s0, s12, 8
	s_addc_u32 s1, s13, 0
	s_cmp_gt_u32 s17, 7
	s_cbranch_scc1 .LBB8_48
; %bb.45:                               ;   in Loop: Header=BB8_28 Depth=1
	s_cmp_eq_u32 s17, 0
	s_cbranch_scc1 .LBB8_49
; %bb.46:                               ;   in Loop: Header=BB8_28 Depth=1
	v_mov_b32_e32 v12, 0
	s_mov_b64 s[0:1], 0
	v_mov_b32_e32 v13, 0
	s_mov_b64 s[14:15], 0
.LBB8_47:                               ;   Parent Loop BB8_28 Depth=1
                                        ; =>  This Inner Loop Header: Depth=2
	s_add_u32 s18, s12, s14
	s_addc_u32 s19, s13, s15
	global_load_ubyte v6, v26, s[18:19]
	s_add_u32 s14, s14, 1
	s_addc_u32 s15, s15, 0
	s_waitcnt vmcnt(0)
	v_and_b32_e32 v25, 0xffff, v6
	v_lshlrev_b64 v[6:7], s0, v[25:26]
	s_add_u32 s0, s0, 8
	s_addc_u32 s1, s1, 0
	v_or_b32_e32 v12, v6, v12
	s_cmp_lg_u32 s17, s14
	v_or_b32_e32 v13, v7, v13
	s_cbranch_scc1 .LBB8_47
	s_branch .LBB8_50
.LBB8_48:                               ;   in Loop: Header=BB8_28 Depth=1
	s_mov_b32 s16, 0
	s_branch .LBB8_51
.LBB8_49:                               ;   in Loop: Header=BB8_28 Depth=1
	v_mov_b32_e32 v12, 0
	v_mov_b32_e32 v13, 0
.LBB8_50:                               ;   in Loop: Header=BB8_28 Depth=1
	s_mov_b64 s[0:1], s[12:13]
	s_mov_b32 s16, 0
	s_cbranch_execnz .LBB8_52
.LBB8_51:                               ;   in Loop: Header=BB8_28 Depth=1
	global_load_dwordx2 v[12:13], v26, s[12:13]
	s_add_i32 s16, s17, -8
.LBB8_52:                               ;   in Loop: Header=BB8_28 Depth=1
	s_add_u32 s12, s0, 8
	s_addc_u32 s13, s1, 0
	s_cmp_gt_u32 s16, 7
	s_cbranch_scc1 .LBB8_56
; %bb.53:                               ;   in Loop: Header=BB8_28 Depth=1
	s_cmp_eq_u32 s16, 0
	s_cbranch_scc1 .LBB8_57
; %bb.54:                               ;   in Loop: Header=BB8_28 Depth=1
	v_mov_b32_e32 v14, 0
	s_mov_b64 s[12:13], 0
	v_mov_b32_e32 v15, 0
	s_mov_b64 s[14:15], 0
.LBB8_55:                               ;   Parent Loop BB8_28 Depth=1
                                        ; =>  This Inner Loop Header: Depth=2
	s_add_u32 s18, s0, s14
	s_addc_u32 s19, s1, s15
	global_load_ubyte v6, v26, s[18:19]
	s_add_u32 s14, s14, 1
	s_addc_u32 s15, s15, 0
	s_waitcnt vmcnt(0)
	v_and_b32_e32 v25, 0xffff, v6
	v_lshlrev_b64 v[6:7], s12, v[25:26]
	s_add_u32 s12, s12, 8
	s_addc_u32 s13, s13, 0
	v_or_b32_e32 v14, v6, v14
	s_cmp_lg_u32 s16, s14
	v_or_b32_e32 v15, v7, v15
	s_cbranch_scc1 .LBB8_55
	s_branch .LBB8_58
.LBB8_56:                               ;   in Loop: Header=BB8_28 Depth=1
                                        ; implicit-def: $vgpr14_vgpr15
	s_mov_b32 s17, 0
	s_branch .LBB8_59
.LBB8_57:                               ;   in Loop: Header=BB8_28 Depth=1
	v_mov_b32_e32 v14, 0
	v_mov_b32_e32 v15, 0
.LBB8_58:                               ;   in Loop: Header=BB8_28 Depth=1
	s_mov_b64 s[12:13], s[0:1]
	s_mov_b32 s17, 0
	s_cbranch_execnz .LBB8_60
.LBB8_59:                               ;   in Loop: Header=BB8_28 Depth=1
	global_load_dwordx2 v[14:15], v26, s[0:1]
	s_add_i32 s17, s16, -8
.LBB8_60:                               ;   in Loop: Header=BB8_28 Depth=1
	s_add_u32 s0, s12, 8
	s_addc_u32 s1, s13, 0
	s_cmp_gt_u32 s17, 7
	s_cbranch_scc1 .LBB8_64
; %bb.61:                               ;   in Loop: Header=BB8_28 Depth=1
	s_cmp_eq_u32 s17, 0
	s_cbranch_scc1 .LBB8_65
; %bb.62:                               ;   in Loop: Header=BB8_28 Depth=1
	v_mov_b32_e32 v16, 0
	s_mov_b64 s[0:1], 0
	v_mov_b32_e32 v17, 0
	s_mov_b64 s[14:15], 0
.LBB8_63:                               ;   Parent Loop BB8_28 Depth=1
                                        ; =>  This Inner Loop Header: Depth=2
	s_add_u32 s18, s12, s14
	s_addc_u32 s19, s13, s15
	global_load_ubyte v6, v26, s[18:19]
	s_add_u32 s14, s14, 1
	s_addc_u32 s15, s15, 0
	s_waitcnt vmcnt(0)
	v_and_b32_e32 v25, 0xffff, v6
	v_lshlrev_b64 v[6:7], s0, v[25:26]
	s_add_u32 s0, s0, 8
	s_addc_u32 s1, s1, 0
	v_or_b32_e32 v16, v6, v16
	s_cmp_lg_u32 s17, s14
	v_or_b32_e32 v17, v7, v17
	s_cbranch_scc1 .LBB8_63
	s_branch .LBB8_66
.LBB8_64:                               ;   in Loop: Header=BB8_28 Depth=1
	s_mov_b32 s16, 0
	s_branch .LBB8_67
.LBB8_65:                               ;   in Loop: Header=BB8_28 Depth=1
	v_mov_b32_e32 v16, 0
	v_mov_b32_e32 v17, 0
.LBB8_66:                               ;   in Loop: Header=BB8_28 Depth=1
	s_mov_b64 s[0:1], s[12:13]
	s_mov_b32 s16, 0
	s_cbranch_execnz .LBB8_68
.LBB8_67:                               ;   in Loop: Header=BB8_28 Depth=1
	global_load_dwordx2 v[16:17], v26, s[12:13]
	s_add_i32 s16, s17, -8
.LBB8_68:                               ;   in Loop: Header=BB8_28 Depth=1
	s_add_u32 s12, s0, 8
	s_addc_u32 s13, s1, 0
	s_cmp_gt_u32 s16, 7
	s_cbranch_scc1 .LBB8_72
; %bb.69:                               ;   in Loop: Header=BB8_28 Depth=1
	s_cmp_eq_u32 s16, 0
	s_cbranch_scc1 .LBB8_73
; %bb.70:                               ;   in Loop: Header=BB8_28 Depth=1
	v_mov_b32_e32 v18, 0
	s_mov_b64 s[12:13], 0
	v_mov_b32_e32 v19, 0
	s_mov_b64 s[14:15], 0
.LBB8_71:                               ;   Parent Loop BB8_28 Depth=1
                                        ; =>  This Inner Loop Header: Depth=2
	s_add_u32 s18, s0, s14
	s_addc_u32 s19, s1, s15
	global_load_ubyte v6, v26, s[18:19]
	s_add_u32 s14, s14, 1
	s_addc_u32 s15, s15, 0
	s_waitcnt vmcnt(0)
	v_and_b32_e32 v25, 0xffff, v6
	v_lshlrev_b64 v[6:7], s12, v[25:26]
	s_add_u32 s12, s12, 8
	s_addc_u32 s13, s13, 0
	v_or_b32_e32 v18, v6, v18
	s_cmp_lg_u32 s16, s14
	v_or_b32_e32 v19, v7, v19
	s_cbranch_scc1 .LBB8_71
	s_branch .LBB8_74
.LBB8_72:                               ;   in Loop: Header=BB8_28 Depth=1
                                        ; implicit-def: $vgpr18_vgpr19
	s_mov_b32 s17, 0
	s_branch .LBB8_75
.LBB8_73:                               ;   in Loop: Header=BB8_28 Depth=1
	v_mov_b32_e32 v18, 0
	v_mov_b32_e32 v19, 0
.LBB8_74:                               ;   in Loop: Header=BB8_28 Depth=1
	s_mov_b64 s[12:13], s[0:1]
	s_mov_b32 s17, 0
	s_cbranch_execnz .LBB8_76
.LBB8_75:                               ;   in Loop: Header=BB8_28 Depth=1
	global_load_dwordx2 v[18:19], v26, s[0:1]
	s_add_i32 s17, s16, -8
.LBB8_76:                               ;   in Loop: Header=BB8_28 Depth=1
	s_cmp_gt_u32 s17, 7
	s_cbranch_scc1 .LBB8_80
; %bb.77:                               ;   in Loop: Header=BB8_28 Depth=1
	s_cmp_eq_u32 s17, 0
	s_cbranch_scc1 .LBB8_81
; %bb.78:                               ;   in Loop: Header=BB8_28 Depth=1
	v_mov_b32_e32 v20, 0
	s_mov_b64 s[0:1], 0
	v_mov_b32_e32 v21, 0
	s_mov_b64 s[14:15], s[12:13]
.LBB8_79:                               ;   Parent Loop BB8_28 Depth=1
                                        ; =>  This Inner Loop Header: Depth=2
	global_load_ubyte v6, v26, s[14:15]
	s_add_i32 s17, s17, -1
	s_waitcnt vmcnt(0)
	v_and_b32_e32 v25, 0xffff, v6
	v_lshlrev_b64 v[6:7], s0, v[25:26]
	s_add_u32 s0, s0, 8
	s_addc_u32 s1, s1, 0
	s_add_u32 s14, s14, 1
	s_addc_u32 s15, s15, 0
	v_or_b32_e32 v20, v6, v20
	s_cmp_lg_u32 s17, 0
	v_or_b32_e32 v21, v7, v21
	s_cbranch_scc1 .LBB8_79
	s_branch .LBB8_82
.LBB8_80:                               ;   in Loop: Header=BB8_28 Depth=1
	s_branch .LBB8_83
.LBB8_81:                               ;   in Loop: Header=BB8_28 Depth=1
	v_mov_b32_e32 v20, 0
	v_mov_b32_e32 v21, 0
.LBB8_82:                               ;   in Loop: Header=BB8_28 Depth=1
	s_cbranch_execnz .LBB8_84
.LBB8_83:                               ;   in Loop: Header=BB8_28 Depth=1
	global_load_dwordx2 v[20:21], v26, s[12:13]
.LBB8_84:                               ;   in Loop: Header=BB8_28 Depth=1
	v_readfirstlane_b32 s0, v30
	v_mov_b32_e32 v6, 0
	v_mov_b32_e32 v7, 0
	v_cmp_eq_u32_e64 s[0:1], s0, v30
	s_and_saveexec_b64 s[12:13], s[0:1]
	s_cbranch_execz .LBB8_90
; %bb.85:                               ;   in Loop: Header=BB8_28 Depth=1
	global_load_dwordx2 v[24:25], v26, s[2:3] offset:24 glc
	s_waitcnt vmcnt(0)
	buffer_wbinvl1_vol
	global_load_dwordx2 v[6:7], v26, s[2:3] offset:40
	global_load_dwordx2 v[22:23], v26, s[2:3]
	s_waitcnt vmcnt(1)
	v_and_b32_e32 v6, v6, v24
	v_and_b32_e32 v7, v7, v25
	v_mul_lo_u32 v7, v7, 24
	v_mul_hi_u32 v27, v6, 24
	v_mul_lo_u32 v6, v6, 24
	v_add_u32_e32 v7, v27, v7
	s_waitcnt vmcnt(0)
	v_add_co_u32_e32 v6, vcc, v22, v6
	v_addc_co_u32_e32 v7, vcc, v23, v7, vcc
	global_load_dwordx2 v[22:23], v[6:7], off glc
	s_waitcnt vmcnt(0)
	global_atomic_cmpswap_x2 v[6:7], v26, v[22:25], s[2:3] offset:24 glc
	s_waitcnt vmcnt(0)
	buffer_wbinvl1_vol
	v_cmp_ne_u64_e32 vcc, v[6:7], v[24:25]
	s_and_saveexec_b64 s[14:15], vcc
	s_cbranch_execz .LBB8_89
; %bb.86:                               ;   in Loop: Header=BB8_28 Depth=1
	s_mov_b64 s[16:17], 0
.LBB8_87:                               ;   Parent Loop BB8_28 Depth=1
                                        ; =>  This Inner Loop Header: Depth=2
	s_sleep 1
	global_load_dwordx2 v[22:23], v26, s[2:3] offset:40
	global_load_dwordx2 v[27:28], v26, s[2:3]
	v_mov_b32_e32 v25, v7
	v_mov_b32_e32 v24, v6
	s_waitcnt vmcnt(1)
	v_and_b32_e32 v6, v22, v24
	s_waitcnt vmcnt(0)
	v_mad_u64_u32 v[6:7], s[18:19], v6, 24, v[27:28]
	v_and_b32_e32 v22, v23, v25
	v_mad_u64_u32 v[22:23], s[18:19], v22, 24, v[7:8]
	v_mov_b32_e32 v7, v22
	global_load_dwordx2 v[22:23], v[6:7], off glc
	s_waitcnt vmcnt(0)
	global_atomic_cmpswap_x2 v[6:7], v26, v[22:25], s[2:3] offset:24 glc
	s_waitcnt vmcnt(0)
	buffer_wbinvl1_vol
	v_cmp_eq_u64_e32 vcc, v[6:7], v[24:25]
	s_or_b64 s[16:17], vcc, s[16:17]
	s_andn2_b64 exec, exec, s[16:17]
	s_cbranch_execnz .LBB8_87
; %bb.88:                               ;   in Loop: Header=BB8_28 Depth=1
	s_or_b64 exec, exec, s[16:17]
.LBB8_89:                               ;   in Loop: Header=BB8_28 Depth=1
	s_or_b64 exec, exec, s[14:15]
.LBB8_90:                               ;   in Loop: Header=BB8_28 Depth=1
	s_or_b64 exec, exec, s[12:13]
	global_load_dwordx2 v[27:28], v26, s[2:3] offset:40
	global_load_dwordx4 v[22:25], v26, s[2:3]
	v_readfirstlane_b32 s13, v7
	v_readfirstlane_b32 s12, v6
	s_mov_b64 s[14:15], exec
	s_waitcnt vmcnt(1)
	v_readfirstlane_b32 s16, v27
	v_readfirstlane_b32 s17, v28
	s_and_b64 s[16:17], s[16:17], s[12:13]
	s_mul_i32 s18, s17, 24
	s_mul_hi_u32 s19, s16, 24
	s_mul_i32 s20, s16, 24
	s_add_i32 s18, s19, s18
	v_mov_b32_e32 v6, s18
	s_waitcnt vmcnt(0)
	v_add_co_u32_e32 v27, vcc, s20, v22
	v_addc_co_u32_e32 v28, vcc, v23, v6, vcc
	s_and_saveexec_b64 s[18:19], s[0:1]
	s_cbranch_execz .LBB8_92
; %bb.91:                               ;   in Loop: Header=BB8_28 Depth=1
	v_mov_b32_e32 v6, s14
	v_mov_b32_e32 v7, s15
	global_store_dwordx4 v[27:28], v[6:9], off offset:8
.LBB8_92:                               ;   in Loop: Header=BB8_28 Depth=1
	s_or_b64 exec, exec, s[18:19]
	s_lshl_b64 s[14:15], s[16:17], 12
	v_mov_b32_e32 v6, s15
	v_add_co_u32_e32 v24, vcc, s14, v24
	v_addc_co_u32_e32 v32, vcc, v25, v6, vcc
	v_cmp_lt_u64_e64 vcc, s[8:9], 57
	s_lshl_b32 s14, s10, 2
	v_cndmask_b32_e32 v6, 0, v31, vcc
	s_add_i32 s14, s14, 28
	v_and_b32_e32 v0, 0xffffff1f, v0
	s_and_b32 s14, s14, 0x1e0
	v_or_b32_e32 v0, v0, v6
	v_or_b32_e32 v0, s14, v0
	v_readfirstlane_b32 s14, v24
	v_readfirstlane_b32 s15, v32
	s_nop 4
	global_store_dwordx4 v29, v[0:3], s[14:15]
	global_store_dwordx4 v29, v[10:13], s[14:15] offset:16
	global_store_dwordx4 v29, v[14:17], s[14:15] offset:32
	;; [unrolled: 1-line block ×3, first 2 shown]
	s_and_saveexec_b64 s[14:15], s[0:1]
	s_cbranch_execz .LBB8_100
; %bb.93:                               ;   in Loop: Header=BB8_28 Depth=1
	global_load_dwordx2 v[12:13], v26, s[2:3] offset:32 glc
	global_load_dwordx2 v[0:1], v26, s[2:3] offset:40
	v_mov_b32_e32 v10, s12
	v_mov_b32_e32 v11, s13
	s_waitcnt vmcnt(0)
	v_readfirstlane_b32 s16, v0
	v_readfirstlane_b32 s17, v1
	s_and_b64 s[16:17], s[16:17], s[12:13]
	s_mul_i32 s17, s17, 24
	s_mul_hi_u32 s18, s16, 24
	s_mul_i32 s16, s16, 24
	s_add_i32 s17, s18, s17
	v_mov_b32_e32 v0, s17
	v_add_co_u32_e32 v6, vcc, s16, v22
	v_addc_co_u32_e32 v7, vcc, v23, v0, vcc
	global_store_dwordx2 v[6:7], v[12:13], off
	s_waitcnt vmcnt(0)
	global_atomic_cmpswap_x2 v[2:3], v26, v[10:13], s[2:3] offset:32 glc
	s_waitcnt vmcnt(0)
	v_cmp_ne_u64_e32 vcc, v[2:3], v[12:13]
	s_and_saveexec_b64 s[16:17], vcc
	s_cbranch_execz .LBB8_96
; %bb.94:                               ;   in Loop: Header=BB8_28 Depth=1
	s_mov_b64 s[18:19], 0
.LBB8_95:                               ;   Parent Loop BB8_28 Depth=1
                                        ; =>  This Inner Loop Header: Depth=2
	s_sleep 1
	global_store_dwordx2 v[6:7], v[2:3], off
	v_mov_b32_e32 v0, s12
	v_mov_b32_e32 v1, s13
	s_waitcnt vmcnt(0)
	global_atomic_cmpswap_x2 v[0:1], v26, v[0:3], s[2:3] offset:32 glc
	s_waitcnt vmcnt(0)
	v_cmp_eq_u64_e32 vcc, v[0:1], v[2:3]
	v_mov_b32_e32 v3, v1
	s_or_b64 s[18:19], vcc, s[18:19]
	v_mov_b32_e32 v2, v0
	s_andn2_b64 exec, exec, s[18:19]
	s_cbranch_execnz .LBB8_95
.LBB8_96:                               ;   in Loop: Header=BB8_28 Depth=1
	s_or_b64 exec, exec, s[16:17]
	global_load_dwordx2 v[0:1], v26, s[2:3] offset:16
	s_mov_b64 s[18:19], exec
	v_mbcnt_lo_u32_b32 v2, s18, 0
	v_mbcnt_hi_u32_b32 v2, s19, v2
	v_cmp_eq_u32_e32 vcc, 0, v2
	s_and_saveexec_b64 s[16:17], vcc
	s_cbranch_execz .LBB8_98
; %bb.97:                               ;   in Loop: Header=BB8_28 Depth=1
	s_bcnt1_i32_b64 s18, s[18:19]
	v_mov_b32_e32 v25, s18
	s_waitcnt vmcnt(0)
	global_atomic_add_x2 v[0:1], v[25:26], off offset:8
.LBB8_98:                               ;   in Loop: Header=BB8_28 Depth=1
	s_or_b64 exec, exec, s[16:17]
	s_waitcnt vmcnt(0)
	global_load_dwordx2 v[2:3], v[0:1], off offset:16
	s_waitcnt vmcnt(0)
	v_cmp_eq_u64_e32 vcc, 0, v[2:3]
	s_cbranch_vccnz .LBB8_100
; %bb.99:                               ;   in Loop: Header=BB8_28 Depth=1
	global_load_dword v25, v[0:1], off offset:24
	s_waitcnt vmcnt(0)
	v_readfirstlane_b32 s16, v25
	s_and_b32 m0, s16, 0xffffff
	global_store_dwordx2 v[2:3], v[25:26], off
	s_sendmsg sendmsg(MSG_INTERRUPT)
.LBB8_100:                              ;   in Loop: Header=BB8_28 Depth=1
	s_or_b64 exec, exec, s[14:15]
	v_add_co_u32_e32 v0, vcc, v24, v29
	v_addc_co_u32_e32 v1, vcc, 0, v32, vcc
	s_branch .LBB8_104
.LBB8_101:                              ;   in Loop: Header=BB8_104 Depth=2
	s_or_b64 exec, exec, s[14:15]
	v_readfirstlane_b32 s14, v2
	s_cmp_eq_u32 s14, 0
	s_cbranch_scc1 .LBB8_103
; %bb.102:                              ;   in Loop: Header=BB8_104 Depth=2
	s_sleep 1
	s_cbranch_execnz .LBB8_104
	s_branch .LBB8_106
.LBB8_103:                              ;   in Loop: Header=BB8_28 Depth=1
	s_branch .LBB8_106
.LBB8_104:                              ;   Parent Loop BB8_28 Depth=1
                                        ; =>  This Inner Loop Header: Depth=2
	v_mov_b32_e32 v2, 1
	s_and_saveexec_b64 s[14:15], s[0:1]
	s_cbranch_execz .LBB8_101
; %bb.105:                              ;   in Loop: Header=BB8_104 Depth=2
	global_load_dword v2, v[27:28], off offset:20 glc
	s_waitcnt vmcnt(0)
	buffer_wbinvl1_vol
	v_and_b32_e32 v2, 1, v2
	s_branch .LBB8_101
.LBB8_106:                              ;   in Loop: Header=BB8_28 Depth=1
	global_load_dwordx2 v[0:1], v[0:1], off
	s_and_saveexec_b64 s[14:15], s[0:1]
	s_cbranch_execz .LBB8_27
; %bb.107:                              ;   in Loop: Header=BB8_28 Depth=1
	global_load_dwordx2 v[2:3], v26, s[2:3] offset:40
	global_load_dwordx2 v[14:15], v26, s[2:3] offset:24 glc
	global_load_dwordx2 v[6:7], v26, s[2:3]
	s_waitcnt vmcnt(2)
	v_readfirstlane_b32 s16, v2
	v_readfirstlane_b32 s17, v3
	s_add_u32 s18, s16, 1
	s_addc_u32 s19, s17, 0
	s_add_u32 s0, s18, s12
	s_addc_u32 s1, s19, s13
	s_cmp_eq_u64 s[0:1], 0
	s_cselect_b32 s1, s19, s1
	s_cselect_b32 s0, s18, s0
	s_and_b64 s[12:13], s[0:1], s[16:17]
	s_mul_i32 s13, s13, 24
	s_mul_hi_u32 s16, s12, 24
	s_mul_i32 s12, s12, 24
	s_add_i32 s13, s16, s13
	v_mov_b32_e32 v3, s13
	s_waitcnt vmcnt(0)
	v_add_co_u32_e32 v2, vcc, s12, v6
	v_addc_co_u32_e32 v3, vcc, v7, v3, vcc
	v_mov_b32_e32 v12, s0
	global_store_dwordx2 v[2:3], v[14:15], off
	v_mov_b32_e32 v13, s1
	s_waitcnt vmcnt(0)
	global_atomic_cmpswap_x2 v[12:13], v26, v[12:15], s[2:3] offset:24 glc
	s_waitcnt vmcnt(0)
	v_cmp_ne_u64_e32 vcc, v[12:13], v[14:15]
	s_and_b64 exec, exec, vcc
	s_cbranch_execz .LBB8_27
; %bb.108:                              ;   in Loop: Header=BB8_28 Depth=1
	s_mov_b64 s[12:13], 0
.LBB8_109:                              ;   Parent Loop BB8_28 Depth=1
                                        ; =>  This Inner Loop Header: Depth=2
	s_sleep 1
	global_store_dwordx2 v[2:3], v[12:13], off
	v_mov_b32_e32 v10, s0
	v_mov_b32_e32 v11, s1
	s_waitcnt vmcnt(0)
	global_atomic_cmpswap_x2 v[6:7], v26, v[10:13], s[2:3] offset:24 glc
	s_waitcnt vmcnt(0)
	v_cmp_eq_u64_e32 vcc, v[6:7], v[12:13]
	v_mov_b32_e32 v13, v7
	s_or_b64 s[12:13], vcc, s[12:13]
	v_mov_b32_e32 v12, v6
	s_andn2_b64 exec, exec, s[12:13]
	s_cbranch_execnz .LBB8_109
	s_branch .LBB8_27
.LBB8_110:
	s_branch .LBB8_138
.LBB8_111:
                                        ; implicit-def: $vgpr0_vgpr1
	s_cbranch_execz .LBB8_138
; %bb.112:
	v_readfirstlane_b32 s0, v30
	v_mov_b32_e32 v7, 0
	v_mov_b32_e32 v8, 0
	v_cmp_eq_u32_e64 s[0:1], s0, v30
	s_and_saveexec_b64 s[6:7], s[0:1]
	s_cbranch_execz .LBB8_118
; %bb.113:
	s_waitcnt vmcnt(0)
	v_mov_b32_e32 v0, 0
	global_load_dwordx2 v[9:10], v0, s[2:3] offset:24 glc
	s_waitcnt vmcnt(0)
	buffer_wbinvl1_vol
	global_load_dwordx2 v[1:2], v0, s[2:3] offset:40
	global_load_dwordx2 v[6:7], v0, s[2:3]
	s_waitcnt vmcnt(1)
	v_and_b32_e32 v1, v1, v9
	v_and_b32_e32 v2, v2, v10
	v_mul_lo_u32 v2, v2, 24
	v_mul_hi_u32 v3, v1, 24
	v_mul_lo_u32 v1, v1, 24
	v_add_u32_e32 v2, v3, v2
	s_waitcnt vmcnt(0)
	v_add_co_u32_e32 v1, vcc, v6, v1
	v_addc_co_u32_e32 v2, vcc, v7, v2, vcc
	global_load_dwordx2 v[7:8], v[1:2], off glc
	s_waitcnt vmcnt(0)
	global_atomic_cmpswap_x2 v[7:8], v0, v[7:10], s[2:3] offset:24 glc
	s_waitcnt vmcnt(0)
	buffer_wbinvl1_vol
	v_cmp_ne_u64_e32 vcc, v[7:8], v[9:10]
	s_and_saveexec_b64 s[8:9], vcc
	s_cbranch_execz .LBB8_117
; %bb.114:
	s_mov_b64 s[10:11], 0
.LBB8_115:                              ; =>This Inner Loop Header: Depth=1
	s_sleep 1
	global_load_dwordx2 v[1:2], v0, s[2:3] offset:40
	global_load_dwordx2 v[11:12], v0, s[2:3]
	v_mov_b32_e32 v10, v8
	v_mov_b32_e32 v9, v7
	s_waitcnt vmcnt(1)
	v_and_b32_e32 v1, v1, v9
	s_waitcnt vmcnt(0)
	v_mad_u64_u32 v[6:7], s[12:13], v1, 24, v[11:12]
	v_and_b32_e32 v2, v2, v10
	v_mov_b32_e32 v1, v7
	v_mad_u64_u32 v[1:2], s[12:13], v2, 24, v[1:2]
	v_mov_b32_e32 v7, v1
	global_load_dwordx2 v[7:8], v[6:7], off glc
	s_waitcnt vmcnt(0)
	global_atomic_cmpswap_x2 v[7:8], v0, v[7:10], s[2:3] offset:24 glc
	s_waitcnt vmcnt(0)
	buffer_wbinvl1_vol
	v_cmp_eq_u64_e32 vcc, v[7:8], v[9:10]
	s_or_b64 s[10:11], vcc, s[10:11]
	s_andn2_b64 exec, exec, s[10:11]
	s_cbranch_execnz .LBB8_115
; %bb.116:
	s_or_b64 exec, exec, s[10:11]
.LBB8_117:
	s_or_b64 exec, exec, s[8:9]
.LBB8_118:
	s_or_b64 exec, exec, s[6:7]
	v_mov_b32_e32 v6, 0
	global_load_dwordx2 v[9:10], v6, s[2:3] offset:40
	global_load_dwordx4 v[0:3], v6, s[2:3]
	v_readfirstlane_b32 s7, v8
	v_readfirstlane_b32 s6, v7
	s_mov_b64 s[8:9], exec
	s_waitcnt vmcnt(1)
	v_readfirstlane_b32 s10, v9
	v_readfirstlane_b32 s11, v10
	s_and_b64 s[10:11], s[10:11], s[6:7]
	s_mul_i32 s12, s11, 24
	s_mul_hi_u32 s13, s10, 24
	s_mul_i32 s14, s10, 24
	s_add_i32 s12, s13, s12
	v_mov_b32_e32 v7, s12
	s_waitcnt vmcnt(0)
	v_add_co_u32_e32 v8, vcc, s14, v0
	v_addc_co_u32_e32 v9, vcc, v1, v7, vcc
	s_and_saveexec_b64 s[12:13], s[0:1]
	s_cbranch_execz .LBB8_120
; %bb.119:
	v_mov_b32_e32 v11, s9
	v_mov_b32_e32 v10, s8
	;; [unrolled: 1-line block ×4, first 2 shown]
	global_store_dwordx4 v[8:9], v[10:13], off offset:8
.LBB8_120:
	s_or_b64 exec, exec, s[12:13]
	s_lshl_b64 s[8:9], s[10:11], 12
	v_mov_b32_e32 v7, s9
	v_add_co_u32_e32 v2, vcc, s8, v2
	v_addc_co_u32_e32 v3, vcc, v3, v7, vcc
	s_movk_i32 s8, 0xff1f
	v_and_or_b32 v4, v4, s8, 32
	v_add_co_u32_e32 v10, vcc, v2, v29
	s_mov_b32 s8, 0
	v_mov_b32_e32 v7, v6
	v_readfirstlane_b32 s12, v2
	v_readfirstlane_b32 s13, v3
	v_addc_co_u32_e32 v11, vcc, 0, v3, vcc
	s_mov_b32 s9, s8
	s_mov_b32 s10, s8
	;; [unrolled: 1-line block ×3, first 2 shown]
	s_nop 0
	global_store_dwordx4 v29, v[4:7], s[12:13]
	v_mov_b32_e32 v2, s8
	v_mov_b32_e32 v3, s9
	;; [unrolled: 1-line block ×4, first 2 shown]
	global_store_dwordx4 v29, v[2:5], s[12:13] offset:16
	global_store_dwordx4 v29, v[2:5], s[12:13] offset:32
	;; [unrolled: 1-line block ×3, first 2 shown]
	s_and_saveexec_b64 s[8:9], s[0:1]
	s_cbranch_execz .LBB8_128
; %bb.121:
	v_mov_b32_e32 v6, 0
	global_load_dwordx2 v[14:15], v6, s[2:3] offset:32 glc
	global_load_dwordx2 v[2:3], v6, s[2:3] offset:40
	v_mov_b32_e32 v12, s6
	v_mov_b32_e32 v13, s7
	s_waitcnt vmcnt(0)
	v_readfirstlane_b32 s10, v2
	v_readfirstlane_b32 s11, v3
	s_and_b64 s[10:11], s[10:11], s[6:7]
	s_mul_i32 s11, s11, 24
	s_mul_hi_u32 s12, s10, 24
	s_mul_i32 s10, s10, 24
	s_add_i32 s11, s12, s11
	v_mov_b32_e32 v2, s11
	v_add_co_u32_e32 v4, vcc, s10, v0
	v_addc_co_u32_e32 v5, vcc, v1, v2, vcc
	global_store_dwordx2 v[4:5], v[14:15], off
	s_waitcnt vmcnt(0)
	global_atomic_cmpswap_x2 v[2:3], v6, v[12:15], s[2:3] offset:32 glc
	s_waitcnt vmcnt(0)
	v_cmp_ne_u64_e32 vcc, v[2:3], v[14:15]
	s_and_saveexec_b64 s[10:11], vcc
	s_cbranch_execz .LBB8_124
; %bb.122:
	s_mov_b64 s[12:13], 0
.LBB8_123:                              ; =>This Inner Loop Header: Depth=1
	s_sleep 1
	global_store_dwordx2 v[4:5], v[2:3], off
	v_mov_b32_e32 v0, s6
	v_mov_b32_e32 v1, s7
	s_waitcnt vmcnt(0)
	global_atomic_cmpswap_x2 v[0:1], v6, v[0:3], s[2:3] offset:32 glc
	s_waitcnt vmcnt(0)
	v_cmp_eq_u64_e32 vcc, v[0:1], v[2:3]
	v_mov_b32_e32 v3, v1
	s_or_b64 s[12:13], vcc, s[12:13]
	v_mov_b32_e32 v2, v0
	s_andn2_b64 exec, exec, s[12:13]
	s_cbranch_execnz .LBB8_123
.LBB8_124:
	s_or_b64 exec, exec, s[10:11]
	v_mov_b32_e32 v3, 0
	global_load_dwordx2 v[0:1], v3, s[2:3] offset:16
	s_mov_b64 s[10:11], exec
	v_mbcnt_lo_u32_b32 v2, s10, 0
	v_mbcnt_hi_u32_b32 v2, s11, v2
	v_cmp_eq_u32_e32 vcc, 0, v2
	s_and_saveexec_b64 s[12:13], vcc
	s_cbranch_execz .LBB8_126
; %bb.125:
	s_bcnt1_i32_b64 s10, s[10:11]
	v_mov_b32_e32 v2, s10
	s_waitcnt vmcnt(0)
	global_atomic_add_x2 v[0:1], v[2:3], off offset:8
.LBB8_126:
	s_or_b64 exec, exec, s[12:13]
	s_waitcnt vmcnt(0)
	global_load_dwordx2 v[2:3], v[0:1], off offset:16
	s_waitcnt vmcnt(0)
	v_cmp_eq_u64_e32 vcc, 0, v[2:3]
	s_cbranch_vccnz .LBB8_128
; %bb.127:
	global_load_dword v0, v[0:1], off offset:24
	v_mov_b32_e32 v1, 0
	s_waitcnt vmcnt(0)
	v_readfirstlane_b32 s10, v0
	s_and_b32 m0, s10, 0xffffff
	global_store_dwordx2 v[2:3], v[0:1], off
	s_sendmsg sendmsg(MSG_INTERRUPT)
.LBB8_128:
	s_or_b64 exec, exec, s[8:9]
	s_branch .LBB8_132
.LBB8_129:                              ;   in Loop: Header=BB8_132 Depth=1
	s_or_b64 exec, exec, s[8:9]
	v_readfirstlane_b32 s8, v0
	s_cmp_eq_u32 s8, 0
	s_cbranch_scc1 .LBB8_131
; %bb.130:                              ;   in Loop: Header=BB8_132 Depth=1
	s_sleep 1
	s_cbranch_execnz .LBB8_132
	s_branch .LBB8_134
.LBB8_131:
	s_branch .LBB8_134
.LBB8_132:                              ; =>This Inner Loop Header: Depth=1
	v_mov_b32_e32 v0, 1
	s_and_saveexec_b64 s[8:9], s[0:1]
	s_cbranch_execz .LBB8_129
; %bb.133:                              ;   in Loop: Header=BB8_132 Depth=1
	global_load_dword v0, v[8:9], off offset:20 glc
	s_waitcnt vmcnt(0)
	buffer_wbinvl1_vol
	v_and_b32_e32 v0, 1, v0
	s_branch .LBB8_129
.LBB8_134:
	global_load_dwordx2 v[0:1], v[10:11], off
	s_and_saveexec_b64 s[8:9], s[0:1]
	s_cbranch_execz .LBB8_137
; %bb.135:
	v_mov_b32_e32 v8, 0
	global_load_dwordx2 v[2:3], v8, s[2:3] offset:40
	global_load_dwordx2 v[11:12], v8, s[2:3] offset:24 glc
	global_load_dwordx2 v[4:5], v8, s[2:3]
	s_waitcnt vmcnt(2)
	v_readfirstlane_b32 s10, v2
	v_readfirstlane_b32 s11, v3
	s_add_u32 s12, s10, 1
	s_addc_u32 s13, s11, 0
	s_add_u32 s0, s12, s6
	s_addc_u32 s1, s13, s7
	s_cmp_eq_u64 s[0:1], 0
	s_cselect_b32 s1, s13, s1
	s_cselect_b32 s0, s12, s0
	s_and_b64 s[6:7], s[0:1], s[10:11]
	s_mul_i32 s7, s7, 24
	s_mul_hi_u32 s10, s6, 24
	s_mul_i32 s6, s6, 24
	s_add_i32 s7, s10, s7
	v_mov_b32_e32 v2, s7
	s_waitcnt vmcnt(0)
	v_add_co_u32_e32 v6, vcc, s6, v4
	v_addc_co_u32_e32 v7, vcc, v5, v2, vcc
	v_mov_b32_e32 v9, s0
	global_store_dwordx2 v[6:7], v[11:12], off
	v_mov_b32_e32 v10, s1
	s_waitcnt vmcnt(0)
	global_atomic_cmpswap_x2 v[4:5], v8, v[9:12], s[2:3] offset:24 glc
	s_mov_b64 s[6:7], 0
	s_waitcnt vmcnt(0)
	v_cmp_ne_u64_e32 vcc, v[4:5], v[11:12]
	s_and_b64 exec, exec, vcc
	s_cbranch_execz .LBB8_137
.LBB8_136:                              ; =>This Inner Loop Header: Depth=1
	s_sleep 1
	global_store_dwordx2 v[6:7], v[4:5], off
	v_mov_b32_e32 v2, s0
	v_mov_b32_e32 v3, s1
	s_waitcnt vmcnt(0)
	global_atomic_cmpswap_x2 v[2:3], v8, v[2:5], s[2:3] offset:24 glc
	s_waitcnt vmcnt(0)
	v_cmp_eq_u64_e32 vcc, v[2:3], v[4:5]
	v_mov_b32_e32 v5, v3
	s_or_b64 s[6:7], vcc, s[6:7]
	v_mov_b32_e32 v4, v2
	s_andn2_b64 exec, exec, s[6:7]
	s_cbranch_execnz .LBB8_136
.LBB8_137:
	s_or_b64 exec, exec, s[8:9]
.LBB8_138:
	s_getpc_b64 s[8:9]
	s_add_u32 s8, s8, .str.10@rel32@lo+4
	s_addc_u32 s9, s9, .str.10@rel32@hi+12
	s_cmp_lg_u64 s[8:9], 0
	s_cselect_b64 s[6:7], -1, 0
	s_and_b64 vcc, exec, s[6:7]
	s_cbranch_vccz .LBB8_224
; %bb.139:
	s_waitcnt vmcnt(0)
	v_and_b32_e32 v31, 2, v0
	v_mov_b32_e32 v26, 0
	v_and_b32_e32 v2, -3, v0
	v_mov_b32_e32 v3, v1
	s_mov_b64 s[10:11], 52
	v_mov_b32_e32 v8, 2
	v_mov_b32_e32 v9, 1
	s_branch .LBB8_141
.LBB8_140:                              ;   in Loop: Header=BB8_141 Depth=1
	s_or_b64 exec, exec, s[16:17]
	s_sub_u32 s10, s10, s12
	s_subb_u32 s11, s11, s13
	s_add_u32 s8, s8, s12
	s_addc_u32 s9, s9, s13
	s_cmp_lg_u64 s[10:11], 0
	s_cbranch_scc0 .LBB8_223
.LBB8_141:                              ; =>This Loop Header: Depth=1
                                        ;     Child Loop BB8_144 Depth 2
                                        ;     Child Loop BB8_152 Depth 2
	;; [unrolled: 1-line block ×11, first 2 shown]
	v_cmp_lt_u64_e64 s[0:1], s[10:11], 56
	v_cmp_gt_u64_e64 s[14:15], s[10:11], 7
	s_and_b64 s[0:1], s[0:1], exec
	s_cselect_b32 s13, s11, 0
	s_cselect_b32 s12, s10, 56
	s_add_u32 s0, s8, 8
	s_addc_u32 s1, s9, 0
	s_and_b64 vcc, exec, s[14:15]
	s_cbranch_vccnz .LBB8_145
; %bb.142:                              ;   in Loop: Header=BB8_141 Depth=1
	s_cmp_eq_u64 s[10:11], 0
	s_cbranch_scc1 .LBB8_146
; %bb.143:                              ;   in Loop: Header=BB8_141 Depth=1
	v_mov_b32_e32 v4, 0
	s_lshl_b64 s[0:1], s[12:13], 3
	s_mov_b64 s[14:15], 0
	v_mov_b32_e32 v5, 0
	s_mov_b64 s[16:17], s[8:9]
.LBB8_144:                              ;   Parent Loop BB8_141 Depth=1
                                        ; =>  This Inner Loop Header: Depth=2
	global_load_ubyte v6, v26, s[16:17]
	s_waitcnt vmcnt(0)
	v_and_b32_e32 v25, 0xffff, v6
	v_lshlrev_b64 v[6:7], s14, v[25:26]
	s_add_u32 s14, s14, 8
	s_addc_u32 s15, s15, 0
	s_add_u32 s16, s16, 1
	s_addc_u32 s17, s17, 0
	v_or_b32_e32 v4, v6, v4
	s_cmp_lg_u32 s0, s14
	v_or_b32_e32 v5, v7, v5
	s_cbranch_scc1 .LBB8_144
	s_branch .LBB8_147
.LBB8_145:                              ;   in Loop: Header=BB8_141 Depth=1
	s_mov_b32 s18, 0
	s_branch .LBB8_148
.LBB8_146:                              ;   in Loop: Header=BB8_141 Depth=1
	v_mov_b32_e32 v4, 0
	v_mov_b32_e32 v5, 0
.LBB8_147:                              ;   in Loop: Header=BB8_141 Depth=1
	s_mov_b64 s[0:1], s[8:9]
	s_mov_b32 s18, 0
	s_cbranch_execnz .LBB8_149
.LBB8_148:                              ;   in Loop: Header=BB8_141 Depth=1
	global_load_dwordx2 v[4:5], v26, s[8:9]
	s_add_i32 s18, s12, -8
.LBB8_149:                              ;   in Loop: Header=BB8_141 Depth=1
	s_add_u32 s14, s0, 8
	s_addc_u32 s15, s1, 0
	s_cmp_gt_u32 s18, 7
	s_cbranch_scc1 .LBB8_153
; %bb.150:                              ;   in Loop: Header=BB8_141 Depth=1
	s_cmp_eq_u32 s18, 0
	s_cbranch_scc1 .LBB8_154
; %bb.151:                              ;   in Loop: Header=BB8_141 Depth=1
	v_mov_b32_e32 v10, 0
	s_mov_b64 s[14:15], 0
	v_mov_b32_e32 v11, 0
	s_mov_b64 s[16:17], 0
.LBB8_152:                              ;   Parent Loop BB8_141 Depth=1
                                        ; =>  This Inner Loop Header: Depth=2
	s_add_u32 s20, s0, s16
	s_addc_u32 s21, s1, s17
	global_load_ubyte v6, v26, s[20:21]
	s_add_u32 s16, s16, 1
	s_addc_u32 s17, s17, 0
	s_waitcnt vmcnt(0)
	v_and_b32_e32 v25, 0xffff, v6
	v_lshlrev_b64 v[6:7], s14, v[25:26]
	s_add_u32 s14, s14, 8
	s_addc_u32 s15, s15, 0
	v_or_b32_e32 v10, v6, v10
	s_cmp_lg_u32 s18, s16
	v_or_b32_e32 v11, v7, v11
	s_cbranch_scc1 .LBB8_152
	s_branch .LBB8_155
.LBB8_153:                              ;   in Loop: Header=BB8_141 Depth=1
                                        ; implicit-def: $vgpr10_vgpr11
	s_mov_b32 s19, 0
	s_branch .LBB8_156
.LBB8_154:                              ;   in Loop: Header=BB8_141 Depth=1
	v_mov_b32_e32 v10, 0
	v_mov_b32_e32 v11, 0
.LBB8_155:                              ;   in Loop: Header=BB8_141 Depth=1
	s_mov_b64 s[14:15], s[0:1]
	s_mov_b32 s19, 0
	s_cbranch_execnz .LBB8_157
.LBB8_156:                              ;   in Loop: Header=BB8_141 Depth=1
	global_load_dwordx2 v[10:11], v26, s[0:1]
	s_add_i32 s19, s18, -8
.LBB8_157:                              ;   in Loop: Header=BB8_141 Depth=1
	s_add_u32 s0, s14, 8
	s_addc_u32 s1, s15, 0
	s_cmp_gt_u32 s19, 7
	s_cbranch_scc1 .LBB8_161
; %bb.158:                              ;   in Loop: Header=BB8_141 Depth=1
	s_cmp_eq_u32 s19, 0
	s_cbranch_scc1 .LBB8_162
; %bb.159:                              ;   in Loop: Header=BB8_141 Depth=1
	v_mov_b32_e32 v12, 0
	s_mov_b64 s[0:1], 0
	v_mov_b32_e32 v13, 0
	s_mov_b64 s[16:17], 0
.LBB8_160:                              ;   Parent Loop BB8_141 Depth=1
                                        ; =>  This Inner Loop Header: Depth=2
	s_add_u32 s20, s14, s16
	s_addc_u32 s21, s15, s17
	global_load_ubyte v6, v26, s[20:21]
	s_add_u32 s16, s16, 1
	s_addc_u32 s17, s17, 0
	s_waitcnt vmcnt(0)
	v_and_b32_e32 v25, 0xffff, v6
	v_lshlrev_b64 v[6:7], s0, v[25:26]
	s_add_u32 s0, s0, 8
	s_addc_u32 s1, s1, 0
	v_or_b32_e32 v12, v6, v12
	s_cmp_lg_u32 s19, s16
	v_or_b32_e32 v13, v7, v13
	s_cbranch_scc1 .LBB8_160
	s_branch .LBB8_163
.LBB8_161:                              ;   in Loop: Header=BB8_141 Depth=1
	s_mov_b32 s18, 0
	s_branch .LBB8_164
.LBB8_162:                              ;   in Loop: Header=BB8_141 Depth=1
	v_mov_b32_e32 v12, 0
	v_mov_b32_e32 v13, 0
.LBB8_163:                              ;   in Loop: Header=BB8_141 Depth=1
	s_mov_b64 s[0:1], s[14:15]
	s_mov_b32 s18, 0
	s_cbranch_execnz .LBB8_165
.LBB8_164:                              ;   in Loop: Header=BB8_141 Depth=1
	global_load_dwordx2 v[12:13], v26, s[14:15]
	s_add_i32 s18, s19, -8
.LBB8_165:                              ;   in Loop: Header=BB8_141 Depth=1
	s_add_u32 s14, s0, 8
	s_addc_u32 s15, s1, 0
	s_cmp_gt_u32 s18, 7
	s_cbranch_scc1 .LBB8_169
; %bb.166:                              ;   in Loop: Header=BB8_141 Depth=1
	s_cmp_eq_u32 s18, 0
	s_cbranch_scc1 .LBB8_170
; %bb.167:                              ;   in Loop: Header=BB8_141 Depth=1
	v_mov_b32_e32 v14, 0
	s_mov_b64 s[14:15], 0
	v_mov_b32_e32 v15, 0
	s_mov_b64 s[16:17], 0
.LBB8_168:                              ;   Parent Loop BB8_141 Depth=1
                                        ; =>  This Inner Loop Header: Depth=2
	s_add_u32 s20, s0, s16
	s_addc_u32 s21, s1, s17
	global_load_ubyte v6, v26, s[20:21]
	s_add_u32 s16, s16, 1
	s_addc_u32 s17, s17, 0
	s_waitcnt vmcnt(0)
	v_and_b32_e32 v25, 0xffff, v6
	v_lshlrev_b64 v[6:7], s14, v[25:26]
	s_add_u32 s14, s14, 8
	s_addc_u32 s15, s15, 0
	v_or_b32_e32 v14, v6, v14
	s_cmp_lg_u32 s18, s16
	v_or_b32_e32 v15, v7, v15
	s_cbranch_scc1 .LBB8_168
	s_branch .LBB8_171
.LBB8_169:                              ;   in Loop: Header=BB8_141 Depth=1
                                        ; implicit-def: $vgpr14_vgpr15
	s_mov_b32 s19, 0
	s_branch .LBB8_172
.LBB8_170:                              ;   in Loop: Header=BB8_141 Depth=1
	v_mov_b32_e32 v14, 0
	v_mov_b32_e32 v15, 0
.LBB8_171:                              ;   in Loop: Header=BB8_141 Depth=1
	s_mov_b64 s[14:15], s[0:1]
	s_mov_b32 s19, 0
	s_cbranch_execnz .LBB8_173
.LBB8_172:                              ;   in Loop: Header=BB8_141 Depth=1
	global_load_dwordx2 v[14:15], v26, s[0:1]
	s_add_i32 s19, s18, -8
.LBB8_173:                              ;   in Loop: Header=BB8_141 Depth=1
	s_add_u32 s0, s14, 8
	s_addc_u32 s1, s15, 0
	s_cmp_gt_u32 s19, 7
	s_cbranch_scc1 .LBB8_177
; %bb.174:                              ;   in Loop: Header=BB8_141 Depth=1
	s_cmp_eq_u32 s19, 0
	s_cbranch_scc1 .LBB8_178
; %bb.175:                              ;   in Loop: Header=BB8_141 Depth=1
	v_mov_b32_e32 v16, 0
	s_mov_b64 s[0:1], 0
	v_mov_b32_e32 v17, 0
	s_mov_b64 s[16:17], 0
.LBB8_176:                              ;   Parent Loop BB8_141 Depth=1
                                        ; =>  This Inner Loop Header: Depth=2
	s_add_u32 s20, s14, s16
	s_addc_u32 s21, s15, s17
	global_load_ubyte v6, v26, s[20:21]
	s_add_u32 s16, s16, 1
	s_addc_u32 s17, s17, 0
	s_waitcnt vmcnt(0)
	v_and_b32_e32 v25, 0xffff, v6
	v_lshlrev_b64 v[6:7], s0, v[25:26]
	s_add_u32 s0, s0, 8
	s_addc_u32 s1, s1, 0
	v_or_b32_e32 v16, v6, v16
	s_cmp_lg_u32 s19, s16
	v_or_b32_e32 v17, v7, v17
	s_cbranch_scc1 .LBB8_176
	s_branch .LBB8_179
.LBB8_177:                              ;   in Loop: Header=BB8_141 Depth=1
	s_mov_b32 s18, 0
	s_branch .LBB8_180
.LBB8_178:                              ;   in Loop: Header=BB8_141 Depth=1
	v_mov_b32_e32 v16, 0
	v_mov_b32_e32 v17, 0
.LBB8_179:                              ;   in Loop: Header=BB8_141 Depth=1
	s_mov_b64 s[0:1], s[14:15]
	s_mov_b32 s18, 0
	s_cbranch_execnz .LBB8_181
.LBB8_180:                              ;   in Loop: Header=BB8_141 Depth=1
	global_load_dwordx2 v[16:17], v26, s[14:15]
	s_add_i32 s18, s19, -8
.LBB8_181:                              ;   in Loop: Header=BB8_141 Depth=1
	s_add_u32 s14, s0, 8
	s_addc_u32 s15, s1, 0
	s_cmp_gt_u32 s18, 7
	s_cbranch_scc1 .LBB8_185
; %bb.182:                              ;   in Loop: Header=BB8_141 Depth=1
	s_cmp_eq_u32 s18, 0
	s_cbranch_scc1 .LBB8_186
; %bb.183:                              ;   in Loop: Header=BB8_141 Depth=1
	v_mov_b32_e32 v18, 0
	s_mov_b64 s[14:15], 0
	v_mov_b32_e32 v19, 0
	s_mov_b64 s[16:17], 0
.LBB8_184:                              ;   Parent Loop BB8_141 Depth=1
                                        ; =>  This Inner Loop Header: Depth=2
	s_add_u32 s20, s0, s16
	s_addc_u32 s21, s1, s17
	global_load_ubyte v6, v26, s[20:21]
	s_add_u32 s16, s16, 1
	s_addc_u32 s17, s17, 0
	s_waitcnt vmcnt(0)
	v_and_b32_e32 v25, 0xffff, v6
	v_lshlrev_b64 v[6:7], s14, v[25:26]
	s_add_u32 s14, s14, 8
	s_addc_u32 s15, s15, 0
	v_or_b32_e32 v18, v6, v18
	s_cmp_lg_u32 s18, s16
	v_or_b32_e32 v19, v7, v19
	s_cbranch_scc1 .LBB8_184
	s_branch .LBB8_187
.LBB8_185:                              ;   in Loop: Header=BB8_141 Depth=1
                                        ; implicit-def: $vgpr18_vgpr19
	s_mov_b32 s19, 0
	s_branch .LBB8_188
.LBB8_186:                              ;   in Loop: Header=BB8_141 Depth=1
	v_mov_b32_e32 v18, 0
	v_mov_b32_e32 v19, 0
.LBB8_187:                              ;   in Loop: Header=BB8_141 Depth=1
	s_mov_b64 s[14:15], s[0:1]
	s_mov_b32 s19, 0
	s_cbranch_execnz .LBB8_189
.LBB8_188:                              ;   in Loop: Header=BB8_141 Depth=1
	global_load_dwordx2 v[18:19], v26, s[0:1]
	s_add_i32 s19, s18, -8
.LBB8_189:                              ;   in Loop: Header=BB8_141 Depth=1
	s_cmp_gt_u32 s19, 7
	s_cbranch_scc1 .LBB8_193
; %bb.190:                              ;   in Loop: Header=BB8_141 Depth=1
	s_cmp_eq_u32 s19, 0
	s_cbranch_scc1 .LBB8_194
; %bb.191:                              ;   in Loop: Header=BB8_141 Depth=1
	v_mov_b32_e32 v20, 0
	s_mov_b64 s[0:1], 0
	v_mov_b32_e32 v21, 0
	s_mov_b64 s[16:17], s[14:15]
.LBB8_192:                              ;   Parent Loop BB8_141 Depth=1
                                        ; =>  This Inner Loop Header: Depth=2
	global_load_ubyte v6, v26, s[16:17]
	s_add_i32 s19, s19, -1
	s_waitcnt vmcnt(0)
	v_and_b32_e32 v25, 0xffff, v6
	v_lshlrev_b64 v[6:7], s0, v[25:26]
	s_add_u32 s0, s0, 8
	s_addc_u32 s1, s1, 0
	s_add_u32 s16, s16, 1
	s_addc_u32 s17, s17, 0
	v_or_b32_e32 v20, v6, v20
	s_cmp_lg_u32 s19, 0
	v_or_b32_e32 v21, v7, v21
	s_cbranch_scc1 .LBB8_192
	s_branch .LBB8_195
.LBB8_193:                              ;   in Loop: Header=BB8_141 Depth=1
	s_branch .LBB8_196
.LBB8_194:                              ;   in Loop: Header=BB8_141 Depth=1
	v_mov_b32_e32 v20, 0
	v_mov_b32_e32 v21, 0
.LBB8_195:                              ;   in Loop: Header=BB8_141 Depth=1
	s_cbranch_execnz .LBB8_197
.LBB8_196:                              ;   in Loop: Header=BB8_141 Depth=1
	global_load_dwordx2 v[20:21], v26, s[14:15]
.LBB8_197:                              ;   in Loop: Header=BB8_141 Depth=1
	v_readfirstlane_b32 s0, v30
	v_mov_b32_e32 v6, 0
	v_mov_b32_e32 v7, 0
	v_cmp_eq_u32_e64 s[0:1], s0, v30
	s_and_saveexec_b64 s[14:15], s[0:1]
	s_cbranch_execz .LBB8_203
; %bb.198:                              ;   in Loop: Header=BB8_141 Depth=1
	global_load_dwordx2 v[24:25], v26, s[2:3] offset:24 glc
	s_waitcnt vmcnt(0)
	buffer_wbinvl1_vol
	global_load_dwordx2 v[6:7], v26, s[2:3] offset:40
	global_load_dwordx2 v[22:23], v26, s[2:3]
	s_waitcnt vmcnt(1)
	v_and_b32_e32 v6, v6, v24
	v_and_b32_e32 v7, v7, v25
	v_mul_lo_u32 v7, v7, 24
	v_mul_hi_u32 v27, v6, 24
	v_mul_lo_u32 v6, v6, 24
	v_add_u32_e32 v7, v27, v7
	s_waitcnt vmcnt(0)
	v_add_co_u32_e32 v6, vcc, v22, v6
	v_addc_co_u32_e32 v7, vcc, v23, v7, vcc
	global_load_dwordx2 v[22:23], v[6:7], off glc
	s_waitcnt vmcnt(0)
	global_atomic_cmpswap_x2 v[6:7], v26, v[22:25], s[2:3] offset:24 glc
	s_waitcnt vmcnt(0)
	buffer_wbinvl1_vol
	v_cmp_ne_u64_e32 vcc, v[6:7], v[24:25]
	s_and_saveexec_b64 s[16:17], vcc
	s_cbranch_execz .LBB8_202
; %bb.199:                              ;   in Loop: Header=BB8_141 Depth=1
	s_mov_b64 s[18:19], 0
.LBB8_200:                              ;   Parent Loop BB8_141 Depth=1
                                        ; =>  This Inner Loop Header: Depth=2
	s_sleep 1
	global_load_dwordx2 v[22:23], v26, s[2:3] offset:40
	global_load_dwordx2 v[27:28], v26, s[2:3]
	v_mov_b32_e32 v25, v7
	v_mov_b32_e32 v24, v6
	s_waitcnt vmcnt(1)
	v_and_b32_e32 v6, v22, v24
	s_waitcnt vmcnt(0)
	v_mad_u64_u32 v[6:7], s[20:21], v6, 24, v[27:28]
	v_and_b32_e32 v22, v23, v25
	v_mad_u64_u32 v[22:23], s[20:21], v22, 24, v[7:8]
	v_mov_b32_e32 v7, v22
	global_load_dwordx2 v[22:23], v[6:7], off glc
	s_waitcnt vmcnt(0)
	global_atomic_cmpswap_x2 v[6:7], v26, v[22:25], s[2:3] offset:24 glc
	s_waitcnt vmcnt(0)
	buffer_wbinvl1_vol
	v_cmp_eq_u64_e32 vcc, v[6:7], v[24:25]
	s_or_b64 s[18:19], vcc, s[18:19]
	s_andn2_b64 exec, exec, s[18:19]
	s_cbranch_execnz .LBB8_200
; %bb.201:                              ;   in Loop: Header=BB8_141 Depth=1
	s_or_b64 exec, exec, s[18:19]
.LBB8_202:                              ;   in Loop: Header=BB8_141 Depth=1
	s_or_b64 exec, exec, s[16:17]
.LBB8_203:                              ;   in Loop: Header=BB8_141 Depth=1
	s_or_b64 exec, exec, s[14:15]
	global_load_dwordx2 v[27:28], v26, s[2:3] offset:40
	global_load_dwordx4 v[22:25], v26, s[2:3]
	v_readfirstlane_b32 s15, v7
	v_readfirstlane_b32 s14, v6
	s_mov_b64 s[16:17], exec
	s_waitcnt vmcnt(1)
	v_readfirstlane_b32 s18, v27
	v_readfirstlane_b32 s19, v28
	s_and_b64 s[18:19], s[18:19], s[14:15]
	s_mul_i32 s20, s19, 24
	s_mul_hi_u32 s21, s18, 24
	s_mul_i32 s22, s18, 24
	s_add_i32 s20, s21, s20
	v_mov_b32_e32 v6, s20
	s_waitcnt vmcnt(0)
	v_add_co_u32_e32 v27, vcc, s22, v22
	v_addc_co_u32_e32 v28, vcc, v23, v6, vcc
	s_and_saveexec_b64 s[20:21], s[0:1]
	s_cbranch_execz .LBB8_205
; %bb.204:                              ;   in Loop: Header=BB8_141 Depth=1
	v_mov_b32_e32 v6, s16
	v_mov_b32_e32 v7, s17
	global_store_dwordx4 v[27:28], v[6:9], off offset:8
.LBB8_205:                              ;   in Loop: Header=BB8_141 Depth=1
	s_or_b64 exec, exec, s[20:21]
	s_lshl_b64 s[16:17], s[18:19], 12
	v_mov_b32_e32 v6, s17
	v_add_co_u32_e32 v24, vcc, s16, v24
	v_addc_co_u32_e32 v32, vcc, v25, v6, vcc
	v_cmp_lt_u64_e64 vcc, s[10:11], 57
	s_lshl_b32 s16, s12, 2
	v_cndmask_b32_e32 v6, 0, v31, vcc
	s_add_i32 s16, s16, 28
	v_and_b32_e32 v2, 0xffffff1f, v2
	s_and_b32 s16, s16, 0x1e0
	v_or_b32_e32 v2, v2, v6
	v_or_b32_e32 v2, s16, v2
	v_readfirstlane_b32 s16, v24
	v_readfirstlane_b32 s17, v32
	s_nop 4
	global_store_dwordx4 v29, v[2:5], s[16:17]
	global_store_dwordx4 v29, v[10:13], s[16:17] offset:16
	global_store_dwordx4 v29, v[14:17], s[16:17] offset:32
	;; [unrolled: 1-line block ×3, first 2 shown]
	s_and_saveexec_b64 s[16:17], s[0:1]
	s_cbranch_execz .LBB8_213
; %bb.206:                              ;   in Loop: Header=BB8_141 Depth=1
	global_load_dwordx2 v[12:13], v26, s[2:3] offset:32 glc
	global_load_dwordx2 v[2:3], v26, s[2:3] offset:40
	v_mov_b32_e32 v10, s14
	v_mov_b32_e32 v11, s15
	s_waitcnt vmcnt(0)
	v_readfirstlane_b32 s18, v2
	v_readfirstlane_b32 s19, v3
	s_and_b64 s[18:19], s[18:19], s[14:15]
	s_mul_i32 s19, s19, 24
	s_mul_hi_u32 s20, s18, 24
	s_mul_i32 s18, s18, 24
	s_add_i32 s19, s20, s19
	v_mov_b32_e32 v2, s19
	v_add_co_u32_e32 v6, vcc, s18, v22
	v_addc_co_u32_e32 v7, vcc, v23, v2, vcc
	global_store_dwordx2 v[6:7], v[12:13], off
	s_waitcnt vmcnt(0)
	global_atomic_cmpswap_x2 v[4:5], v26, v[10:13], s[2:3] offset:32 glc
	s_waitcnt vmcnt(0)
	v_cmp_ne_u64_e32 vcc, v[4:5], v[12:13]
	s_and_saveexec_b64 s[18:19], vcc
	s_cbranch_execz .LBB8_209
; %bb.207:                              ;   in Loop: Header=BB8_141 Depth=1
	s_mov_b64 s[20:21], 0
.LBB8_208:                              ;   Parent Loop BB8_141 Depth=1
                                        ; =>  This Inner Loop Header: Depth=2
	s_sleep 1
	global_store_dwordx2 v[6:7], v[4:5], off
	v_mov_b32_e32 v2, s14
	v_mov_b32_e32 v3, s15
	s_waitcnt vmcnt(0)
	global_atomic_cmpswap_x2 v[2:3], v26, v[2:5], s[2:3] offset:32 glc
	s_waitcnt vmcnt(0)
	v_cmp_eq_u64_e32 vcc, v[2:3], v[4:5]
	v_mov_b32_e32 v5, v3
	s_or_b64 s[20:21], vcc, s[20:21]
	v_mov_b32_e32 v4, v2
	s_andn2_b64 exec, exec, s[20:21]
	s_cbranch_execnz .LBB8_208
.LBB8_209:                              ;   in Loop: Header=BB8_141 Depth=1
	s_or_b64 exec, exec, s[18:19]
	global_load_dwordx2 v[2:3], v26, s[2:3] offset:16
	s_mov_b64 s[20:21], exec
	v_mbcnt_lo_u32_b32 v4, s20, 0
	v_mbcnt_hi_u32_b32 v4, s21, v4
	v_cmp_eq_u32_e32 vcc, 0, v4
	s_and_saveexec_b64 s[18:19], vcc
	s_cbranch_execz .LBB8_211
; %bb.210:                              ;   in Loop: Header=BB8_141 Depth=1
	s_bcnt1_i32_b64 s20, s[20:21]
	v_mov_b32_e32 v25, s20
	s_waitcnt vmcnt(0)
	global_atomic_add_x2 v[2:3], v[25:26], off offset:8
.LBB8_211:                              ;   in Loop: Header=BB8_141 Depth=1
	s_or_b64 exec, exec, s[18:19]
	s_waitcnt vmcnt(0)
	global_load_dwordx2 v[4:5], v[2:3], off offset:16
	s_waitcnt vmcnt(0)
	v_cmp_eq_u64_e32 vcc, 0, v[4:5]
	s_cbranch_vccnz .LBB8_213
; %bb.212:                              ;   in Loop: Header=BB8_141 Depth=1
	global_load_dword v25, v[2:3], off offset:24
	s_waitcnt vmcnt(0)
	v_readfirstlane_b32 s18, v25
	s_and_b32 m0, s18, 0xffffff
	global_store_dwordx2 v[4:5], v[25:26], off
	s_sendmsg sendmsg(MSG_INTERRUPT)
.LBB8_213:                              ;   in Loop: Header=BB8_141 Depth=1
	s_or_b64 exec, exec, s[16:17]
	v_add_co_u32_e32 v2, vcc, v24, v29
	v_addc_co_u32_e32 v3, vcc, 0, v32, vcc
	s_branch .LBB8_217
.LBB8_214:                              ;   in Loop: Header=BB8_217 Depth=2
	s_or_b64 exec, exec, s[16:17]
	v_readfirstlane_b32 s16, v4
	s_cmp_eq_u32 s16, 0
	s_cbranch_scc1 .LBB8_216
; %bb.215:                              ;   in Loop: Header=BB8_217 Depth=2
	s_sleep 1
	s_cbranch_execnz .LBB8_217
	s_branch .LBB8_219
.LBB8_216:                              ;   in Loop: Header=BB8_141 Depth=1
	s_branch .LBB8_219
.LBB8_217:                              ;   Parent Loop BB8_141 Depth=1
                                        ; =>  This Inner Loop Header: Depth=2
	v_mov_b32_e32 v4, 1
	s_and_saveexec_b64 s[16:17], s[0:1]
	s_cbranch_execz .LBB8_214
; %bb.218:                              ;   in Loop: Header=BB8_217 Depth=2
	global_load_dword v4, v[27:28], off offset:20 glc
	s_waitcnt vmcnt(0)
	buffer_wbinvl1_vol
	v_and_b32_e32 v4, 1, v4
	s_branch .LBB8_214
.LBB8_219:                              ;   in Loop: Header=BB8_141 Depth=1
	global_load_dwordx2 v[2:3], v[2:3], off
	s_and_saveexec_b64 s[16:17], s[0:1]
	s_cbranch_execz .LBB8_140
; %bb.220:                              ;   in Loop: Header=BB8_141 Depth=1
	global_load_dwordx2 v[4:5], v26, s[2:3] offset:40
	global_load_dwordx2 v[14:15], v26, s[2:3] offset:24 glc
	global_load_dwordx2 v[6:7], v26, s[2:3]
	s_waitcnt vmcnt(2)
	v_readfirstlane_b32 s18, v4
	v_readfirstlane_b32 s19, v5
	s_add_u32 s20, s18, 1
	s_addc_u32 s21, s19, 0
	s_add_u32 s0, s20, s14
	s_addc_u32 s1, s21, s15
	s_cmp_eq_u64 s[0:1], 0
	s_cselect_b32 s1, s21, s1
	s_cselect_b32 s0, s20, s0
	s_and_b64 s[14:15], s[0:1], s[18:19]
	s_mul_i32 s15, s15, 24
	s_mul_hi_u32 s18, s14, 24
	s_mul_i32 s14, s14, 24
	s_add_i32 s15, s18, s15
	v_mov_b32_e32 v4, s15
	s_waitcnt vmcnt(0)
	v_add_co_u32_e32 v10, vcc, s14, v6
	v_addc_co_u32_e32 v11, vcc, v7, v4, vcc
	v_mov_b32_e32 v12, s0
	global_store_dwordx2 v[10:11], v[14:15], off
	v_mov_b32_e32 v13, s1
	s_waitcnt vmcnt(0)
	global_atomic_cmpswap_x2 v[6:7], v26, v[12:15], s[2:3] offset:24 glc
	s_waitcnt vmcnt(0)
	v_cmp_ne_u64_e32 vcc, v[6:7], v[14:15]
	s_and_b64 exec, exec, vcc
	s_cbranch_execz .LBB8_140
; %bb.221:                              ;   in Loop: Header=BB8_141 Depth=1
	s_mov_b64 s[14:15], 0
.LBB8_222:                              ;   Parent Loop BB8_141 Depth=1
                                        ; =>  This Inner Loop Header: Depth=2
	s_sleep 1
	global_store_dwordx2 v[10:11], v[6:7], off
	v_mov_b32_e32 v4, s0
	v_mov_b32_e32 v5, s1
	s_waitcnt vmcnt(0)
	global_atomic_cmpswap_x2 v[4:5], v26, v[4:7], s[2:3] offset:24 glc
	s_waitcnt vmcnt(0)
	v_cmp_eq_u64_e32 vcc, v[4:5], v[6:7]
	v_mov_b32_e32 v7, v5
	s_or_b64 s[14:15], vcc, s[14:15]
	v_mov_b32_e32 v6, v4
	s_andn2_b64 exec, exec, s[14:15]
	s_cbranch_execnz .LBB8_222
	s_branch .LBB8_140
.LBB8_223:
	s_branch .LBB8_251
.LBB8_224:
                                        ; implicit-def: $vgpr2_vgpr3
	s_cbranch_execz .LBB8_251
; %bb.225:
	v_readfirstlane_b32 s0, v30
	v_mov_b32_e32 v8, 0
	v_mov_b32_e32 v9, 0
	v_cmp_eq_u32_e64 s[0:1], s0, v30
	s_and_saveexec_b64 s[8:9], s[0:1]
	s_cbranch_execz .LBB8_231
; %bb.226:
	s_waitcnt vmcnt(0)
	v_mov_b32_e32 v2, 0
	global_load_dwordx2 v[5:6], v2, s[2:3] offset:24 glc
	s_waitcnt vmcnt(0)
	buffer_wbinvl1_vol
	global_load_dwordx2 v[3:4], v2, s[2:3] offset:40
	global_load_dwordx2 v[7:8], v2, s[2:3]
	s_waitcnt vmcnt(1)
	v_and_b32_e32 v3, v3, v5
	v_and_b32_e32 v4, v4, v6
	v_mul_lo_u32 v4, v4, 24
	v_mul_hi_u32 v9, v3, 24
	v_mul_lo_u32 v3, v3, 24
	v_add_u32_e32 v4, v9, v4
	s_waitcnt vmcnt(0)
	v_add_co_u32_e32 v3, vcc, v7, v3
	v_addc_co_u32_e32 v4, vcc, v8, v4, vcc
	global_load_dwordx2 v[3:4], v[3:4], off glc
	s_waitcnt vmcnt(0)
	global_atomic_cmpswap_x2 v[8:9], v2, v[3:6], s[2:3] offset:24 glc
	s_waitcnt vmcnt(0)
	buffer_wbinvl1_vol
	v_cmp_ne_u64_e32 vcc, v[8:9], v[5:6]
	s_and_saveexec_b64 s[10:11], vcc
	s_cbranch_execz .LBB8_230
; %bb.227:
	s_mov_b64 s[12:13], 0
.LBB8_228:                              ; =>This Inner Loop Header: Depth=1
	s_sleep 1
	global_load_dwordx2 v[3:4], v2, s[2:3] offset:40
	global_load_dwordx2 v[10:11], v2, s[2:3]
	v_mov_b32_e32 v5, v8
	v_mov_b32_e32 v6, v9
	s_waitcnt vmcnt(1)
	v_and_b32_e32 v3, v3, v5
	s_waitcnt vmcnt(0)
	v_mad_u64_u32 v[7:8], s[14:15], v3, 24, v[10:11]
	v_and_b32_e32 v4, v4, v6
	v_mov_b32_e32 v3, v8
	v_mad_u64_u32 v[3:4], s[14:15], v4, 24, v[3:4]
	v_mov_b32_e32 v8, v3
	global_load_dwordx2 v[3:4], v[7:8], off glc
	s_waitcnt vmcnt(0)
	global_atomic_cmpswap_x2 v[8:9], v2, v[3:6], s[2:3] offset:24 glc
	s_waitcnt vmcnt(0)
	buffer_wbinvl1_vol
	v_cmp_eq_u64_e32 vcc, v[8:9], v[5:6]
	s_or_b64 s[12:13], vcc, s[12:13]
	s_andn2_b64 exec, exec, s[12:13]
	s_cbranch_execnz .LBB8_228
; %bb.229:
	s_or_b64 exec, exec, s[12:13]
.LBB8_230:
	s_or_b64 exec, exec, s[10:11]
.LBB8_231:
	s_or_b64 exec, exec, s[8:9]
	s_waitcnt vmcnt(0)
	v_mov_b32_e32 v2, 0
	global_load_dwordx2 v[10:11], v2, s[2:3] offset:40
	global_load_dwordx4 v[4:7], v2, s[2:3]
	v_readfirstlane_b32 s9, v9
	v_readfirstlane_b32 s8, v8
	s_mov_b64 s[10:11], exec
	s_waitcnt vmcnt(1)
	v_readfirstlane_b32 s12, v10
	v_readfirstlane_b32 s13, v11
	s_and_b64 s[12:13], s[12:13], s[8:9]
	s_mul_i32 s14, s13, 24
	s_mul_hi_u32 s15, s12, 24
	s_mul_i32 s16, s12, 24
	s_add_i32 s14, s15, s14
	v_mov_b32_e32 v3, s14
	s_waitcnt vmcnt(0)
	v_add_co_u32_e32 v8, vcc, s16, v4
	v_addc_co_u32_e32 v9, vcc, v5, v3, vcc
	s_and_saveexec_b64 s[14:15], s[0:1]
	s_cbranch_execz .LBB8_233
; %bb.232:
	v_mov_b32_e32 v10, s10
	v_mov_b32_e32 v11, s11
	;; [unrolled: 1-line block ×4, first 2 shown]
	global_store_dwordx4 v[8:9], v[10:13], off offset:8
.LBB8_233:
	s_or_b64 exec, exec, s[14:15]
	s_lshl_b64 s[10:11], s[12:13], 12
	v_mov_b32_e32 v3, s11
	v_add_co_u32_e32 v10, vcc, s10, v6
	v_addc_co_u32_e32 v11, vcc, v7, v3, vcc
	s_movk_i32 s10, 0xff1f
	v_and_or_b32 v0, v0, s10, 32
	s_mov_b32 s12, 0
	v_mov_b32_e32 v3, v2
	v_readfirstlane_b32 s10, v10
	v_readfirstlane_b32 s11, v11
	v_add_co_u32_e32 v6, vcc, v10, v29
	s_mov_b32 s13, s12
	s_mov_b32 s14, s12
	;; [unrolled: 1-line block ×3, first 2 shown]
	s_nop 0
	global_store_dwordx4 v29, v[0:3], s[10:11]
	v_addc_co_u32_e32 v7, vcc, 0, v11, vcc
	v_mov_b32_e32 v0, s12
	v_mov_b32_e32 v1, s13
	;; [unrolled: 1-line block ×4, first 2 shown]
	global_store_dwordx4 v29, v[0:3], s[10:11] offset:16
	global_store_dwordx4 v29, v[0:3], s[10:11] offset:32
	global_store_dwordx4 v29, v[0:3], s[10:11] offset:48
	s_and_saveexec_b64 s[10:11], s[0:1]
	s_cbranch_execz .LBB8_241
; %bb.234:
	v_mov_b32_e32 v10, 0
	global_load_dwordx2 v[13:14], v10, s[2:3] offset:32 glc
	global_load_dwordx2 v[0:1], v10, s[2:3] offset:40
	v_mov_b32_e32 v11, s8
	v_mov_b32_e32 v12, s9
	s_waitcnt vmcnt(0)
	v_readfirstlane_b32 s12, v0
	v_readfirstlane_b32 s13, v1
	s_and_b64 s[12:13], s[12:13], s[8:9]
	s_mul_i32 s13, s13, 24
	s_mul_hi_u32 s14, s12, 24
	s_mul_i32 s12, s12, 24
	s_add_i32 s13, s14, s13
	v_mov_b32_e32 v0, s13
	v_add_co_u32_e32 v4, vcc, s12, v4
	v_addc_co_u32_e32 v5, vcc, v5, v0, vcc
	global_store_dwordx2 v[4:5], v[13:14], off
	s_waitcnt vmcnt(0)
	global_atomic_cmpswap_x2 v[2:3], v10, v[11:14], s[2:3] offset:32 glc
	s_waitcnt vmcnt(0)
	v_cmp_ne_u64_e32 vcc, v[2:3], v[13:14]
	s_and_saveexec_b64 s[12:13], vcc
	s_cbranch_execz .LBB8_237
; %bb.235:
	s_mov_b64 s[14:15], 0
.LBB8_236:                              ; =>This Inner Loop Header: Depth=1
	s_sleep 1
	global_store_dwordx2 v[4:5], v[2:3], off
	v_mov_b32_e32 v0, s8
	v_mov_b32_e32 v1, s9
	s_waitcnt vmcnt(0)
	global_atomic_cmpswap_x2 v[0:1], v10, v[0:3], s[2:3] offset:32 glc
	s_waitcnt vmcnt(0)
	v_cmp_eq_u64_e32 vcc, v[0:1], v[2:3]
	v_mov_b32_e32 v3, v1
	s_or_b64 s[14:15], vcc, s[14:15]
	v_mov_b32_e32 v2, v0
	s_andn2_b64 exec, exec, s[14:15]
	s_cbranch_execnz .LBB8_236
.LBB8_237:
	s_or_b64 exec, exec, s[12:13]
	v_mov_b32_e32 v3, 0
	global_load_dwordx2 v[0:1], v3, s[2:3] offset:16
	s_mov_b64 s[12:13], exec
	v_mbcnt_lo_u32_b32 v2, s12, 0
	v_mbcnt_hi_u32_b32 v2, s13, v2
	v_cmp_eq_u32_e32 vcc, 0, v2
	s_and_saveexec_b64 s[14:15], vcc
	s_cbranch_execz .LBB8_239
; %bb.238:
	s_bcnt1_i32_b64 s12, s[12:13]
	v_mov_b32_e32 v2, s12
	s_waitcnt vmcnt(0)
	global_atomic_add_x2 v[0:1], v[2:3], off offset:8
.LBB8_239:
	s_or_b64 exec, exec, s[14:15]
	s_waitcnt vmcnt(0)
	global_load_dwordx2 v[2:3], v[0:1], off offset:16
	s_waitcnt vmcnt(0)
	v_cmp_eq_u64_e32 vcc, 0, v[2:3]
	s_cbranch_vccnz .LBB8_241
; %bb.240:
	global_load_dword v0, v[0:1], off offset:24
	v_mov_b32_e32 v1, 0
	s_waitcnt vmcnt(0)
	v_readfirstlane_b32 s12, v0
	s_and_b32 m0, s12, 0xffffff
	global_store_dwordx2 v[2:3], v[0:1], off
	s_sendmsg sendmsg(MSG_INTERRUPT)
.LBB8_241:
	s_or_b64 exec, exec, s[10:11]
	s_branch .LBB8_245
.LBB8_242:                              ;   in Loop: Header=BB8_245 Depth=1
	s_or_b64 exec, exec, s[10:11]
	v_readfirstlane_b32 s10, v0
	s_cmp_eq_u32 s10, 0
	s_cbranch_scc1 .LBB8_244
; %bb.243:                              ;   in Loop: Header=BB8_245 Depth=1
	s_sleep 1
	s_cbranch_execnz .LBB8_245
	s_branch .LBB8_247
.LBB8_244:
	s_branch .LBB8_247
.LBB8_245:                              ; =>This Inner Loop Header: Depth=1
	v_mov_b32_e32 v0, 1
	s_and_saveexec_b64 s[10:11], s[0:1]
	s_cbranch_execz .LBB8_242
; %bb.246:                              ;   in Loop: Header=BB8_245 Depth=1
	global_load_dword v0, v[8:9], off offset:20 glc
	s_waitcnt vmcnt(0)
	buffer_wbinvl1_vol
	v_and_b32_e32 v0, 1, v0
	s_branch .LBB8_242
.LBB8_247:
	global_load_dwordx2 v[2:3], v[6:7], off
	s_and_saveexec_b64 s[10:11], s[0:1]
	s_cbranch_execz .LBB8_250
; %bb.248:
	v_mov_b32_e32 v8, 0
	global_load_dwordx2 v[0:1], v8, s[2:3] offset:40
	global_load_dwordx2 v[11:12], v8, s[2:3] offset:24 glc
	global_load_dwordx2 v[4:5], v8, s[2:3]
	s_waitcnt vmcnt(2)
	v_readfirstlane_b32 s12, v0
	v_readfirstlane_b32 s13, v1
	s_add_u32 s14, s12, 1
	s_addc_u32 s15, s13, 0
	s_add_u32 s0, s14, s8
	s_addc_u32 s1, s15, s9
	s_cmp_eq_u64 s[0:1], 0
	s_cselect_b32 s1, s15, s1
	s_cselect_b32 s0, s14, s0
	s_and_b64 s[8:9], s[0:1], s[12:13]
	s_mul_i32 s9, s9, 24
	s_mul_hi_u32 s12, s8, 24
	s_mul_i32 s8, s8, 24
	s_add_i32 s9, s12, s9
	v_mov_b32_e32 v1, s9
	s_waitcnt vmcnt(0)
	v_add_co_u32_e32 v0, vcc, s8, v4
	v_addc_co_u32_e32 v1, vcc, v5, v1, vcc
	v_mov_b32_e32 v9, s0
	global_store_dwordx2 v[0:1], v[11:12], off
	v_mov_b32_e32 v10, s1
	s_waitcnt vmcnt(0)
	global_atomic_cmpswap_x2 v[6:7], v8, v[9:12], s[2:3] offset:24 glc
	s_mov_b64 s[8:9], 0
	s_waitcnt vmcnt(0)
	v_cmp_ne_u64_e32 vcc, v[6:7], v[11:12]
	s_and_b64 exec, exec, vcc
	s_cbranch_execz .LBB8_250
.LBB8_249:                              ; =>This Inner Loop Header: Depth=1
	s_sleep 1
	global_store_dwordx2 v[0:1], v[6:7], off
	v_mov_b32_e32 v4, s0
	v_mov_b32_e32 v5, s1
	s_waitcnt vmcnt(0)
	global_atomic_cmpswap_x2 v[4:5], v8, v[4:7], s[2:3] offset:24 glc
	s_waitcnt vmcnt(0)
	v_cmp_eq_u64_e32 vcc, v[4:5], v[6:7]
	v_mov_b32_e32 v7, v5
	s_or_b64 s[8:9], vcc, s[8:9]
	v_mov_b32_e32 v6, v4
	s_andn2_b64 exec, exec, s[8:9]
	s_cbranch_execnz .LBB8_249
.LBB8_250:
	s_or_b64 exec, exec, s[10:11]
.LBB8_251:
	v_readfirstlane_b32 s0, v30
	s_waitcnt vmcnt(0)
	v_mov_b32_e32 v0, 0
	v_mov_b32_e32 v1, 0
	v_cmp_eq_u32_e64 s[0:1], s0, v30
	s_and_saveexec_b64 s[8:9], s[0:1]
	s_cbranch_execz .LBB8_257
; %bb.252:
	v_mov_b32_e32 v4, 0
	global_load_dwordx2 v[7:8], v4, s[2:3] offset:24 glc
	s_waitcnt vmcnt(0)
	buffer_wbinvl1_vol
	global_load_dwordx2 v[0:1], v4, s[2:3] offset:40
	global_load_dwordx2 v[5:6], v4, s[2:3]
	s_waitcnt vmcnt(1)
	v_and_b32_e32 v0, v0, v7
	v_and_b32_e32 v1, v1, v8
	v_mul_lo_u32 v1, v1, 24
	v_mul_hi_u32 v9, v0, 24
	v_mul_lo_u32 v0, v0, 24
	v_add_u32_e32 v1, v9, v1
	s_waitcnt vmcnt(0)
	v_add_co_u32_e32 v0, vcc, v5, v0
	v_addc_co_u32_e32 v1, vcc, v6, v1, vcc
	global_load_dwordx2 v[5:6], v[0:1], off glc
	s_waitcnt vmcnt(0)
	global_atomic_cmpswap_x2 v[0:1], v4, v[5:8], s[2:3] offset:24 glc
	s_waitcnt vmcnt(0)
	buffer_wbinvl1_vol
	v_cmp_ne_u64_e32 vcc, v[0:1], v[7:8]
	s_and_saveexec_b64 s[10:11], vcc
	s_cbranch_execz .LBB8_256
; %bb.253:
	s_mov_b64 s[12:13], 0
.LBB8_254:                              ; =>This Inner Loop Header: Depth=1
	s_sleep 1
	global_load_dwordx2 v[5:6], v4, s[2:3] offset:40
	global_load_dwordx2 v[9:10], v4, s[2:3]
	v_mov_b32_e32 v8, v1
	v_mov_b32_e32 v7, v0
	s_waitcnt vmcnt(1)
	v_and_b32_e32 v0, v5, v7
	s_waitcnt vmcnt(0)
	v_mad_u64_u32 v[0:1], s[14:15], v0, 24, v[9:10]
	v_and_b32_e32 v5, v6, v8
	v_mad_u64_u32 v[5:6], s[14:15], v5, 24, v[1:2]
	v_mov_b32_e32 v1, v5
	global_load_dwordx2 v[5:6], v[0:1], off glc
	s_waitcnt vmcnt(0)
	global_atomic_cmpswap_x2 v[0:1], v4, v[5:8], s[2:3] offset:24 glc
	s_waitcnt vmcnt(0)
	buffer_wbinvl1_vol
	v_cmp_eq_u64_e32 vcc, v[0:1], v[7:8]
	s_or_b64 s[12:13], vcc, s[12:13]
	s_andn2_b64 exec, exec, s[12:13]
	s_cbranch_execnz .LBB8_254
; %bb.255:
	s_or_b64 exec, exec, s[12:13]
.LBB8_256:
	s_or_b64 exec, exec, s[10:11]
.LBB8_257:
	s_or_b64 exec, exec, s[8:9]
	v_mov_b32_e32 v4, 0
	global_load_dwordx2 v[10:11], v4, s[2:3] offset:40
	global_load_dwordx4 v[6:9], v4, s[2:3]
	v_readfirstlane_b32 s9, v1
	v_readfirstlane_b32 s8, v0
	s_mov_b64 s[10:11], exec
	s_waitcnt vmcnt(1)
	v_readfirstlane_b32 s12, v10
	v_readfirstlane_b32 s13, v11
	s_and_b64 s[12:13], s[12:13], s[8:9]
	s_mul_i32 s14, s13, 24
	s_mul_hi_u32 s15, s12, 24
	s_mul_i32 s16, s12, 24
	s_add_i32 s14, s15, s14
	v_mov_b32_e32 v0, s14
	s_waitcnt vmcnt(0)
	v_add_co_u32_e32 v10, vcc, s16, v6
	v_addc_co_u32_e32 v11, vcc, v7, v0, vcc
	s_and_saveexec_b64 s[14:15], s[0:1]
	s_cbranch_execz .LBB8_259
; %bb.258:
	v_mov_b32_e32 v13, s11
	v_mov_b32_e32 v12, s10
	;; [unrolled: 1-line block ×4, first 2 shown]
	global_store_dwordx4 v[10:11], v[12:15], off offset:8
.LBB8_259:
	s_or_b64 exec, exec, s[14:15]
	s_lshl_b64 s[10:11], s[12:13], 12
	v_mov_b32_e32 v0, s11
	v_add_co_u32_e32 v1, vcc, s10, v8
	v_addc_co_u32_e32 v0, vcc, v9, v0, vcc
	s_movk_i32 s10, 0xff1d
	v_and_or_b32 v2, v2, s10, 34
	s_mov_b32 s12, 0
	v_mov_b32_e32 v5, v4
	v_readfirstlane_b32 s10, v1
	v_readfirstlane_b32 s11, v0
	s_mov_b32 s13, s12
	s_mov_b32 s14, s12
	;; [unrolled: 1-line block ×3, first 2 shown]
	s_nop 1
	global_store_dwordx4 v29, v[2:5], s[10:11]
	v_mov_b32_e32 v0, s12
	v_mov_b32_e32 v1, s13
	v_mov_b32_e32 v2, s14
	v_mov_b32_e32 v3, s15
	global_store_dwordx4 v29, v[0:3], s[10:11] offset:16
	global_store_dwordx4 v29, v[0:3], s[10:11] offset:32
	global_store_dwordx4 v29, v[0:3], s[10:11] offset:48
	s_and_saveexec_b64 s[10:11], s[0:1]
	s_cbranch_execz .LBB8_267
; %bb.260:
	v_mov_b32_e32 v8, 0
	global_load_dwordx2 v[14:15], v8, s[2:3] offset:32 glc
	global_load_dwordx2 v[0:1], v8, s[2:3] offset:40
	v_mov_b32_e32 v12, s8
	v_mov_b32_e32 v13, s9
	s_waitcnt vmcnt(0)
	v_readfirstlane_b32 s12, v0
	v_readfirstlane_b32 s13, v1
	s_and_b64 s[12:13], s[12:13], s[8:9]
	s_mul_i32 s13, s13, 24
	s_mul_hi_u32 s14, s12, 24
	s_mul_i32 s12, s12, 24
	s_add_i32 s13, s14, s13
	v_mov_b32_e32 v0, s13
	v_add_co_u32_e32 v4, vcc, s12, v6
	v_addc_co_u32_e32 v5, vcc, v7, v0, vcc
	global_store_dwordx2 v[4:5], v[14:15], off
	s_waitcnt vmcnt(0)
	global_atomic_cmpswap_x2 v[2:3], v8, v[12:15], s[2:3] offset:32 glc
	s_waitcnt vmcnt(0)
	v_cmp_ne_u64_e32 vcc, v[2:3], v[14:15]
	s_and_saveexec_b64 s[12:13], vcc
	s_cbranch_execz .LBB8_263
; %bb.261:
	s_mov_b64 s[14:15], 0
.LBB8_262:                              ; =>This Inner Loop Header: Depth=1
	s_sleep 1
	global_store_dwordx2 v[4:5], v[2:3], off
	v_mov_b32_e32 v0, s8
	v_mov_b32_e32 v1, s9
	s_waitcnt vmcnt(0)
	global_atomic_cmpswap_x2 v[0:1], v8, v[0:3], s[2:3] offset:32 glc
	s_waitcnt vmcnt(0)
	v_cmp_eq_u64_e32 vcc, v[0:1], v[2:3]
	v_mov_b32_e32 v3, v1
	s_or_b64 s[14:15], vcc, s[14:15]
	v_mov_b32_e32 v2, v0
	s_andn2_b64 exec, exec, s[14:15]
	s_cbranch_execnz .LBB8_262
.LBB8_263:
	s_or_b64 exec, exec, s[12:13]
	v_mov_b32_e32 v3, 0
	global_load_dwordx2 v[0:1], v3, s[2:3] offset:16
	s_mov_b64 s[12:13], exec
	v_mbcnt_lo_u32_b32 v2, s12, 0
	v_mbcnt_hi_u32_b32 v2, s13, v2
	v_cmp_eq_u32_e32 vcc, 0, v2
	s_and_saveexec_b64 s[14:15], vcc
	s_cbranch_execz .LBB8_265
; %bb.264:
	s_bcnt1_i32_b64 s12, s[12:13]
	v_mov_b32_e32 v2, s12
	s_waitcnt vmcnt(0)
	global_atomic_add_x2 v[0:1], v[2:3], off offset:8
.LBB8_265:
	s_or_b64 exec, exec, s[14:15]
	s_waitcnt vmcnt(0)
	global_load_dwordx2 v[2:3], v[0:1], off offset:16
	s_waitcnt vmcnt(0)
	v_cmp_eq_u64_e32 vcc, 0, v[2:3]
	s_cbranch_vccnz .LBB8_267
; %bb.266:
	global_load_dword v0, v[0:1], off offset:24
	v_mov_b32_e32 v1, 0
	s_waitcnt vmcnt(0)
	v_readfirstlane_b32 s12, v0
	s_and_b32 m0, s12, 0xffffff
	global_store_dwordx2 v[2:3], v[0:1], off
	s_sendmsg sendmsg(MSG_INTERRUPT)
.LBB8_267:
	s_or_b64 exec, exec, s[10:11]
	s_branch .LBB8_271
.LBB8_268:                              ;   in Loop: Header=BB8_271 Depth=1
	s_or_b64 exec, exec, s[10:11]
	v_readfirstlane_b32 s10, v0
	s_cmp_eq_u32 s10, 0
	s_cbranch_scc1 .LBB8_270
; %bb.269:                              ;   in Loop: Header=BB8_271 Depth=1
	s_sleep 1
	s_cbranch_execnz .LBB8_271
	s_branch .LBB8_273
.LBB8_270:
	s_branch .LBB8_273
.LBB8_271:                              ; =>This Inner Loop Header: Depth=1
	v_mov_b32_e32 v0, 1
	s_and_saveexec_b64 s[10:11], s[0:1]
	s_cbranch_execz .LBB8_268
; %bb.272:                              ;   in Loop: Header=BB8_271 Depth=1
	global_load_dword v0, v[10:11], off offset:20 glc
	s_waitcnt vmcnt(0)
	buffer_wbinvl1_vol
	v_and_b32_e32 v0, 1, v0
	s_branch .LBB8_268
.LBB8_273:
	s_and_saveexec_b64 s[10:11], s[0:1]
	s_cbranch_execz .LBB8_276
; %bb.274:
	v_mov_b32_e32 v6, 0
	global_load_dwordx2 v[0:1], v6, s[2:3] offset:40
	global_load_dwordx2 v[9:10], v6, s[2:3] offset:24 glc
	global_load_dwordx2 v[2:3], v6, s[2:3]
	s_waitcnt vmcnt(2)
	v_readfirstlane_b32 s12, v0
	v_readfirstlane_b32 s13, v1
	s_add_u32 s14, s12, 1
	s_addc_u32 s15, s13, 0
	s_add_u32 s0, s14, s8
	s_addc_u32 s1, s15, s9
	s_cmp_eq_u64 s[0:1], 0
	s_cselect_b32 s1, s15, s1
	s_cselect_b32 s0, s14, s0
	s_and_b64 s[8:9], s[0:1], s[12:13]
	s_mul_i32 s9, s9, 24
	s_mul_hi_u32 s12, s8, 24
	s_mul_i32 s8, s8, 24
	s_add_i32 s9, s12, s9
	v_mov_b32_e32 v0, s9
	s_waitcnt vmcnt(0)
	v_add_co_u32_e32 v4, vcc, s8, v2
	v_addc_co_u32_e32 v5, vcc, v3, v0, vcc
	v_mov_b32_e32 v7, s0
	global_store_dwordx2 v[4:5], v[9:10], off
	v_mov_b32_e32 v8, s1
	s_waitcnt vmcnt(0)
	global_atomic_cmpswap_x2 v[2:3], v6, v[7:10], s[2:3] offset:24 glc
	s_mov_b64 s[8:9], 0
	s_waitcnt vmcnt(0)
	v_cmp_ne_u64_e32 vcc, v[2:3], v[9:10]
	s_and_b64 exec, exec, vcc
	s_cbranch_execz .LBB8_276
.LBB8_275:                              ; =>This Inner Loop Header: Depth=1
	s_sleep 1
	global_store_dwordx2 v[4:5], v[2:3], off
	v_mov_b32_e32 v0, s0
	v_mov_b32_e32 v1, s1
	s_waitcnt vmcnt(0)
	global_atomic_cmpswap_x2 v[0:1], v6, v[0:3], s[2:3] offset:24 glc
	s_waitcnt vmcnt(0)
	v_cmp_eq_u64_e32 vcc, v[0:1], v[2:3]
	v_mov_b32_e32 v3, v1
	s_or_b64 s[8:9], vcc, s[8:9]
	v_mov_b32_e32 v2, v0
	s_andn2_b64 exec, exec, s[8:9]
	s_cbranch_execnz .LBB8_275
.LBB8_276:
	s_or_b64 exec, exec, s[10:11]
	v_readfirstlane_b32 s0, v30
	v_mov_b32_e32 v5, 0
	v_mov_b32_e32 v6, 0
	v_cmp_eq_u32_e64 s[0:1], s0, v30
	s_waitcnt vmcnt(0) lgkmcnt(0)
	s_barrier
	s_and_saveexec_b64 s[8:9], s[0:1]
	s_cbranch_execz .LBB8_282
; %bb.277:
	v_mov_b32_e32 v0, 0
	global_load_dwordx2 v[3:4], v0, s[2:3] offset:24 glc
	s_waitcnt vmcnt(0)
	buffer_wbinvl1_vol
	global_load_dwordx2 v[1:2], v0, s[2:3] offset:40
	global_load_dwordx2 v[5:6], v0, s[2:3]
	s_waitcnt vmcnt(1)
	v_and_b32_e32 v1, v1, v3
	v_and_b32_e32 v2, v2, v4
	v_mul_lo_u32 v2, v2, 24
	v_mul_hi_u32 v7, v1, 24
	v_mul_lo_u32 v1, v1, 24
	v_add_u32_e32 v2, v7, v2
	s_waitcnt vmcnt(0)
	v_add_co_u32_e32 v1, vcc, v5, v1
	v_addc_co_u32_e32 v2, vcc, v6, v2, vcc
	global_load_dwordx2 v[1:2], v[1:2], off glc
	s_waitcnt vmcnt(0)
	global_atomic_cmpswap_x2 v[5:6], v0, v[1:4], s[2:3] offset:24 glc
	s_waitcnt vmcnt(0)
	buffer_wbinvl1_vol
	v_cmp_ne_u64_e32 vcc, v[5:6], v[3:4]
	s_and_saveexec_b64 s[10:11], vcc
	s_cbranch_execz .LBB8_281
; %bb.278:
	s_mov_b64 s[12:13], 0
.LBB8_279:                              ; =>This Inner Loop Header: Depth=1
	s_sleep 1
	global_load_dwordx2 v[1:2], v0, s[2:3] offset:40
	global_load_dwordx2 v[7:8], v0, s[2:3]
	v_mov_b32_e32 v3, v5
	v_mov_b32_e32 v4, v6
	s_waitcnt vmcnt(1)
	v_and_b32_e32 v1, v1, v3
	s_waitcnt vmcnt(0)
	v_mad_u64_u32 v[5:6], s[14:15], v1, 24, v[7:8]
	v_and_b32_e32 v2, v2, v4
	v_mov_b32_e32 v1, v6
	v_mad_u64_u32 v[1:2], s[14:15], v2, 24, v[1:2]
	v_mov_b32_e32 v6, v1
	global_load_dwordx2 v[1:2], v[5:6], off glc
	s_waitcnt vmcnt(0)
	global_atomic_cmpswap_x2 v[5:6], v0, v[1:4], s[2:3] offset:24 glc
	s_waitcnt vmcnt(0)
	buffer_wbinvl1_vol
	v_cmp_eq_u64_e32 vcc, v[5:6], v[3:4]
	s_or_b64 s[12:13], vcc, s[12:13]
	s_andn2_b64 exec, exec, s[12:13]
	s_cbranch_execnz .LBB8_279
; %bb.280:
	s_or_b64 exec, exec, s[12:13]
.LBB8_281:
	s_or_b64 exec, exec, s[10:11]
.LBB8_282:
	s_or_b64 exec, exec, s[8:9]
	v_mov_b32_e32 v4, 0
	global_load_dwordx2 v[7:8], v4, s[2:3] offset:40
	global_load_dwordx4 v[0:3], v4, s[2:3]
	v_readfirstlane_b32 s9, v6
	v_readfirstlane_b32 s8, v5
	s_mov_b64 s[10:11], exec
	s_waitcnt vmcnt(1)
	v_readfirstlane_b32 s12, v7
	v_readfirstlane_b32 s13, v8
	s_and_b64 s[12:13], s[12:13], s[8:9]
	s_mul_i32 s14, s13, 24
	s_mul_hi_u32 s15, s12, 24
	s_mul_i32 s16, s12, 24
	s_add_i32 s14, s15, s14
	v_mov_b32_e32 v5, s14
	s_waitcnt vmcnt(0)
	v_add_co_u32_e32 v7, vcc, s16, v0
	v_addc_co_u32_e32 v8, vcc, v1, v5, vcc
	s_and_saveexec_b64 s[14:15], s[0:1]
	s_cbranch_execz .LBB8_284
; %bb.283:
	v_mov_b32_e32 v9, s10
	v_mov_b32_e32 v10, s11
	;; [unrolled: 1-line block ×4, first 2 shown]
	global_store_dwordx4 v[7:8], v[9:12], off offset:8
.LBB8_284:
	s_or_b64 exec, exec, s[14:15]
	s_lshl_b64 s[10:11], s[12:13], 12
	v_mov_b32_e32 v5, s11
	v_add_co_u32_e32 v2, vcc, s10, v2
	v_addc_co_u32_e32 v11, vcc, v3, v5, vcc
	s_mov_b32 s12, 0
	v_mov_b32_e32 v3, 33
	v_mov_b32_e32 v5, v4
	;; [unrolled: 1-line block ×3, first 2 shown]
	v_readfirstlane_b32 s10, v2
	v_readfirstlane_b32 s11, v11
	v_add_co_u32_e32 v9, vcc, v2, v29
	s_mov_b32 s13, s12
	s_mov_b32 s14, s12
	;; [unrolled: 1-line block ×3, first 2 shown]
	s_nop 0
	global_store_dwordx4 v29, v[3:6], s[10:11]
	v_mov_b32_e32 v2, s12
	v_addc_co_u32_e32 v10, vcc, 0, v11, vcc
	v_mov_b32_e32 v3, s13
	v_mov_b32_e32 v4, s14
	;; [unrolled: 1-line block ×3, first 2 shown]
	global_store_dwordx4 v29, v[2:5], s[10:11] offset:16
	global_store_dwordx4 v29, v[2:5], s[10:11] offset:32
	;; [unrolled: 1-line block ×3, first 2 shown]
	s_and_saveexec_b64 s[10:11], s[0:1]
	s_cbranch_execz .LBB8_292
; %bb.285:
	v_mov_b32_e32 v6, 0
	global_load_dwordx2 v[13:14], v6, s[2:3] offset:32 glc
	global_load_dwordx2 v[2:3], v6, s[2:3] offset:40
	v_mov_b32_e32 v11, s8
	v_mov_b32_e32 v12, s9
	s_waitcnt vmcnt(0)
	v_readfirstlane_b32 s12, v2
	v_readfirstlane_b32 s13, v3
	s_and_b64 s[12:13], s[12:13], s[8:9]
	s_mul_i32 s13, s13, 24
	s_mul_hi_u32 s14, s12, 24
	s_mul_i32 s12, s12, 24
	s_add_i32 s13, s14, s13
	v_mov_b32_e32 v2, s13
	v_add_co_u32_e32 v4, vcc, s12, v0
	v_addc_co_u32_e32 v5, vcc, v1, v2, vcc
	global_store_dwordx2 v[4:5], v[13:14], off
	s_waitcnt vmcnt(0)
	global_atomic_cmpswap_x2 v[2:3], v6, v[11:14], s[2:3] offset:32 glc
	s_waitcnt vmcnt(0)
	v_cmp_ne_u64_e32 vcc, v[2:3], v[13:14]
	s_and_saveexec_b64 s[12:13], vcc
	s_cbranch_execz .LBB8_288
; %bb.286:
	s_mov_b64 s[14:15], 0
.LBB8_287:                              ; =>This Inner Loop Header: Depth=1
	s_sleep 1
	global_store_dwordx2 v[4:5], v[2:3], off
	v_mov_b32_e32 v0, s8
	v_mov_b32_e32 v1, s9
	s_waitcnt vmcnt(0)
	global_atomic_cmpswap_x2 v[0:1], v6, v[0:3], s[2:3] offset:32 glc
	s_waitcnt vmcnt(0)
	v_cmp_eq_u64_e32 vcc, v[0:1], v[2:3]
	v_mov_b32_e32 v3, v1
	s_or_b64 s[14:15], vcc, s[14:15]
	v_mov_b32_e32 v2, v0
	s_andn2_b64 exec, exec, s[14:15]
	s_cbranch_execnz .LBB8_287
.LBB8_288:
	s_or_b64 exec, exec, s[12:13]
	v_mov_b32_e32 v3, 0
	global_load_dwordx2 v[0:1], v3, s[2:3] offset:16
	s_mov_b64 s[12:13], exec
	v_mbcnt_lo_u32_b32 v2, s12, 0
	v_mbcnt_hi_u32_b32 v2, s13, v2
	v_cmp_eq_u32_e32 vcc, 0, v2
	s_and_saveexec_b64 s[14:15], vcc
	s_cbranch_execz .LBB8_290
; %bb.289:
	s_bcnt1_i32_b64 s12, s[12:13]
	v_mov_b32_e32 v2, s12
	s_waitcnt vmcnt(0)
	global_atomic_add_x2 v[0:1], v[2:3], off offset:8
.LBB8_290:
	s_or_b64 exec, exec, s[14:15]
	s_waitcnt vmcnt(0)
	global_load_dwordx2 v[2:3], v[0:1], off offset:16
	s_waitcnt vmcnt(0)
	v_cmp_eq_u64_e32 vcc, 0, v[2:3]
	s_cbranch_vccnz .LBB8_292
; %bb.291:
	global_load_dword v0, v[0:1], off offset:24
	v_mov_b32_e32 v1, 0
	s_waitcnt vmcnt(0)
	v_readfirstlane_b32 s12, v0
	s_and_b32 m0, s12, 0xffffff
	global_store_dwordx2 v[2:3], v[0:1], off
	s_sendmsg sendmsg(MSG_INTERRUPT)
.LBB8_292:
	s_or_b64 exec, exec, s[10:11]
	s_branch .LBB8_296
.LBB8_293:                              ;   in Loop: Header=BB8_296 Depth=1
	s_or_b64 exec, exec, s[10:11]
	v_readfirstlane_b32 s10, v0
	s_cmp_eq_u32 s10, 0
	s_cbranch_scc1 .LBB8_295
; %bb.294:                              ;   in Loop: Header=BB8_296 Depth=1
	s_sleep 1
	s_cbranch_execnz .LBB8_296
	s_branch .LBB8_298
.LBB8_295:
	s_branch .LBB8_298
.LBB8_296:                              ; =>This Inner Loop Header: Depth=1
	v_mov_b32_e32 v0, 1
	s_and_saveexec_b64 s[10:11], s[0:1]
	s_cbranch_execz .LBB8_293
; %bb.297:                              ;   in Loop: Header=BB8_296 Depth=1
	global_load_dword v0, v[7:8], off offset:20 glc
	s_waitcnt vmcnt(0)
	buffer_wbinvl1_vol
	v_and_b32_e32 v0, 1, v0
	s_branch .LBB8_293
.LBB8_298:
	global_load_dwordx2 v[4:5], v[9:10], off
	s_and_saveexec_b64 s[10:11], s[0:1]
	s_cbranch_execz .LBB8_301
; %bb.299:
	v_mov_b32_e32 v8, 0
	global_load_dwordx2 v[0:1], v8, s[2:3] offset:40
	global_load_dwordx2 v[11:12], v8, s[2:3] offset:24 glc
	global_load_dwordx2 v[2:3], v8, s[2:3]
	s_waitcnt vmcnt(2)
	v_readfirstlane_b32 s12, v0
	v_readfirstlane_b32 s13, v1
	s_add_u32 s14, s12, 1
	s_addc_u32 s15, s13, 0
	s_add_u32 s0, s14, s8
	s_addc_u32 s1, s15, s9
	s_cmp_eq_u64 s[0:1], 0
	s_cselect_b32 s1, s15, s1
	s_cselect_b32 s0, s14, s0
	s_and_b64 s[8:9], s[0:1], s[12:13]
	s_mul_i32 s9, s9, 24
	s_mul_hi_u32 s12, s8, 24
	s_mul_i32 s8, s8, 24
	s_add_i32 s9, s12, s9
	v_mov_b32_e32 v0, s9
	s_waitcnt vmcnt(0)
	v_add_co_u32_e32 v6, vcc, s8, v2
	v_addc_co_u32_e32 v7, vcc, v3, v0, vcc
	v_mov_b32_e32 v9, s0
	global_store_dwordx2 v[6:7], v[11:12], off
	v_mov_b32_e32 v10, s1
	s_waitcnt vmcnt(0)
	global_atomic_cmpswap_x2 v[2:3], v8, v[9:12], s[2:3] offset:24 glc
	s_mov_b64 s[8:9], 0
	s_waitcnt vmcnt(0)
	v_cmp_ne_u64_e32 vcc, v[2:3], v[11:12]
	s_and_b64 exec, exec, vcc
	s_cbranch_execz .LBB8_301
.LBB8_300:                              ; =>This Inner Loop Header: Depth=1
	s_sleep 1
	global_store_dwordx2 v[6:7], v[2:3], off
	v_mov_b32_e32 v0, s0
	v_mov_b32_e32 v1, s1
	s_waitcnt vmcnt(0)
	global_atomic_cmpswap_x2 v[0:1], v8, v[0:3], s[2:3] offset:24 glc
	s_waitcnt vmcnt(0)
	v_cmp_eq_u64_e32 vcc, v[0:1], v[2:3]
	v_mov_b32_e32 v3, v1
	s_or_b64 s[8:9], vcc, s[8:9]
	v_mov_b32_e32 v2, v0
	s_andn2_b64 exec, exec, s[8:9]
	s_cbranch_execnz .LBB8_300
.LBB8_301:
	s_or_b64 exec, exec, s[10:11]
	s_and_b64 vcc, exec, s[4:5]
	s_cbranch_vccz .LBB8_473
; %bb.302:
	s_waitcnt vmcnt(0)
	v_and_b32_e32 v31, 2, v4
	v_mov_b32_e32 v26, 0
	v_and_b32_e32 v0, -3, v4
	v_mov_b32_e32 v1, v5
	s_mov_b64 s[10:11], 6
	v_mov_b32_e32 v8, 2
	v_mov_b32_e32 v9, 1
	s_getpc_b64 s[8:9]
	s_add_u32 s8, s8, .str.7@rel32@lo+4
	s_addc_u32 s9, s9, .str.7@rel32@hi+12
	s_branch .LBB8_304
.LBB8_303:                              ;   in Loop: Header=BB8_304 Depth=1
	s_or_b64 exec, exec, s[16:17]
	s_sub_u32 s10, s10, s12
	s_subb_u32 s11, s11, s13
	s_add_u32 s8, s8, s12
	s_addc_u32 s9, s9, s13
	s_cmp_lg_u64 s[10:11], 0
	s_cbranch_scc0 .LBB8_386
.LBB8_304:                              ; =>This Loop Header: Depth=1
                                        ;     Child Loop BB8_307 Depth 2
                                        ;     Child Loop BB8_315 Depth 2
	;; [unrolled: 1-line block ×11, first 2 shown]
	v_cmp_lt_u64_e64 s[0:1], s[10:11], 56
	v_cmp_gt_u64_e64 s[14:15], s[10:11], 7
	s_and_b64 s[0:1], s[0:1], exec
	s_cselect_b32 s13, s11, 0
	s_cselect_b32 s12, s10, 56
	s_add_u32 s0, s8, 8
	s_addc_u32 s1, s9, 0
	s_and_b64 vcc, exec, s[14:15]
	s_cbranch_vccnz .LBB8_308
; %bb.305:                              ;   in Loop: Header=BB8_304 Depth=1
	s_cmp_eq_u64 s[10:11], 0
	s_cbranch_scc1 .LBB8_309
; %bb.306:                              ;   in Loop: Header=BB8_304 Depth=1
	v_mov_b32_e32 v2, 0
	s_lshl_b64 s[0:1], s[12:13], 3
	s_mov_b64 s[14:15], 0
	v_mov_b32_e32 v3, 0
	s_mov_b64 s[16:17], s[8:9]
.LBB8_307:                              ;   Parent Loop BB8_304 Depth=1
                                        ; =>  This Inner Loop Header: Depth=2
	global_load_ubyte v6, v26, s[16:17]
	s_waitcnt vmcnt(0)
	v_and_b32_e32 v25, 0xffff, v6
	v_lshlrev_b64 v[6:7], s14, v[25:26]
	s_add_u32 s14, s14, 8
	s_addc_u32 s15, s15, 0
	s_add_u32 s16, s16, 1
	s_addc_u32 s17, s17, 0
	v_or_b32_e32 v2, v6, v2
	s_cmp_lg_u32 s0, s14
	v_or_b32_e32 v3, v7, v3
	s_cbranch_scc1 .LBB8_307
	s_branch .LBB8_310
.LBB8_308:                              ;   in Loop: Header=BB8_304 Depth=1
	s_mov_b32 s18, 0
	s_branch .LBB8_311
.LBB8_309:                              ;   in Loop: Header=BB8_304 Depth=1
	v_mov_b32_e32 v2, 0
	v_mov_b32_e32 v3, 0
.LBB8_310:                              ;   in Loop: Header=BB8_304 Depth=1
	s_mov_b64 s[0:1], s[8:9]
	s_mov_b32 s18, 0
	s_cbranch_execnz .LBB8_312
.LBB8_311:                              ;   in Loop: Header=BB8_304 Depth=1
	global_load_dwordx2 v[2:3], v26, s[8:9]
	s_add_i32 s18, s12, -8
.LBB8_312:                              ;   in Loop: Header=BB8_304 Depth=1
	s_add_u32 s14, s0, 8
	s_addc_u32 s15, s1, 0
	s_cmp_gt_u32 s18, 7
	s_cbranch_scc1 .LBB8_316
; %bb.313:                              ;   in Loop: Header=BB8_304 Depth=1
	s_cmp_eq_u32 s18, 0
	s_cbranch_scc1 .LBB8_317
; %bb.314:                              ;   in Loop: Header=BB8_304 Depth=1
	v_mov_b32_e32 v10, 0
	s_mov_b64 s[14:15], 0
	v_mov_b32_e32 v11, 0
	s_mov_b64 s[16:17], 0
.LBB8_315:                              ;   Parent Loop BB8_304 Depth=1
                                        ; =>  This Inner Loop Header: Depth=2
	s_add_u32 s20, s0, s16
	s_addc_u32 s21, s1, s17
	global_load_ubyte v6, v26, s[20:21]
	s_add_u32 s16, s16, 1
	s_addc_u32 s17, s17, 0
	s_waitcnt vmcnt(0)
	v_and_b32_e32 v25, 0xffff, v6
	v_lshlrev_b64 v[6:7], s14, v[25:26]
	s_add_u32 s14, s14, 8
	s_addc_u32 s15, s15, 0
	v_or_b32_e32 v10, v6, v10
	s_cmp_lg_u32 s18, s16
	v_or_b32_e32 v11, v7, v11
	s_cbranch_scc1 .LBB8_315
	s_branch .LBB8_318
.LBB8_316:                              ;   in Loop: Header=BB8_304 Depth=1
                                        ; implicit-def: $vgpr10_vgpr11
	s_mov_b32 s19, 0
	s_branch .LBB8_319
.LBB8_317:                              ;   in Loop: Header=BB8_304 Depth=1
	v_mov_b32_e32 v10, 0
	v_mov_b32_e32 v11, 0
.LBB8_318:                              ;   in Loop: Header=BB8_304 Depth=1
	s_mov_b64 s[14:15], s[0:1]
	s_mov_b32 s19, 0
	s_cbranch_execnz .LBB8_320
.LBB8_319:                              ;   in Loop: Header=BB8_304 Depth=1
	global_load_dwordx2 v[10:11], v26, s[0:1]
	s_add_i32 s19, s18, -8
.LBB8_320:                              ;   in Loop: Header=BB8_304 Depth=1
	s_add_u32 s0, s14, 8
	s_addc_u32 s1, s15, 0
	s_cmp_gt_u32 s19, 7
	s_cbranch_scc1 .LBB8_324
; %bb.321:                              ;   in Loop: Header=BB8_304 Depth=1
	s_cmp_eq_u32 s19, 0
	s_cbranch_scc1 .LBB8_325
; %bb.322:                              ;   in Loop: Header=BB8_304 Depth=1
	v_mov_b32_e32 v12, 0
	s_mov_b64 s[0:1], 0
	v_mov_b32_e32 v13, 0
	s_mov_b64 s[16:17], 0
.LBB8_323:                              ;   Parent Loop BB8_304 Depth=1
                                        ; =>  This Inner Loop Header: Depth=2
	s_add_u32 s20, s14, s16
	s_addc_u32 s21, s15, s17
	global_load_ubyte v6, v26, s[20:21]
	s_add_u32 s16, s16, 1
	s_addc_u32 s17, s17, 0
	s_waitcnt vmcnt(0)
	v_and_b32_e32 v25, 0xffff, v6
	v_lshlrev_b64 v[6:7], s0, v[25:26]
	s_add_u32 s0, s0, 8
	s_addc_u32 s1, s1, 0
	v_or_b32_e32 v12, v6, v12
	s_cmp_lg_u32 s19, s16
	v_or_b32_e32 v13, v7, v13
	s_cbranch_scc1 .LBB8_323
	s_branch .LBB8_326
.LBB8_324:                              ;   in Loop: Header=BB8_304 Depth=1
	s_mov_b32 s18, 0
	s_branch .LBB8_327
.LBB8_325:                              ;   in Loop: Header=BB8_304 Depth=1
	v_mov_b32_e32 v12, 0
	v_mov_b32_e32 v13, 0
.LBB8_326:                              ;   in Loop: Header=BB8_304 Depth=1
	s_mov_b64 s[0:1], s[14:15]
	s_mov_b32 s18, 0
	s_cbranch_execnz .LBB8_328
.LBB8_327:                              ;   in Loop: Header=BB8_304 Depth=1
	global_load_dwordx2 v[12:13], v26, s[14:15]
	s_add_i32 s18, s19, -8
.LBB8_328:                              ;   in Loop: Header=BB8_304 Depth=1
	s_add_u32 s14, s0, 8
	s_addc_u32 s15, s1, 0
	s_cmp_gt_u32 s18, 7
	s_cbranch_scc1 .LBB8_332
; %bb.329:                              ;   in Loop: Header=BB8_304 Depth=1
	s_cmp_eq_u32 s18, 0
	s_cbranch_scc1 .LBB8_333
; %bb.330:                              ;   in Loop: Header=BB8_304 Depth=1
	v_mov_b32_e32 v14, 0
	s_mov_b64 s[14:15], 0
	v_mov_b32_e32 v15, 0
	s_mov_b64 s[16:17], 0
.LBB8_331:                              ;   Parent Loop BB8_304 Depth=1
                                        ; =>  This Inner Loop Header: Depth=2
	s_add_u32 s20, s0, s16
	s_addc_u32 s21, s1, s17
	global_load_ubyte v6, v26, s[20:21]
	s_add_u32 s16, s16, 1
	s_addc_u32 s17, s17, 0
	s_waitcnt vmcnt(0)
	v_and_b32_e32 v25, 0xffff, v6
	v_lshlrev_b64 v[6:7], s14, v[25:26]
	s_add_u32 s14, s14, 8
	s_addc_u32 s15, s15, 0
	v_or_b32_e32 v14, v6, v14
	s_cmp_lg_u32 s18, s16
	v_or_b32_e32 v15, v7, v15
	s_cbranch_scc1 .LBB8_331
	s_branch .LBB8_334
.LBB8_332:                              ;   in Loop: Header=BB8_304 Depth=1
                                        ; implicit-def: $vgpr14_vgpr15
	s_mov_b32 s19, 0
	s_branch .LBB8_335
.LBB8_333:                              ;   in Loop: Header=BB8_304 Depth=1
	v_mov_b32_e32 v14, 0
	v_mov_b32_e32 v15, 0
.LBB8_334:                              ;   in Loop: Header=BB8_304 Depth=1
	s_mov_b64 s[14:15], s[0:1]
	s_mov_b32 s19, 0
	s_cbranch_execnz .LBB8_336
.LBB8_335:                              ;   in Loop: Header=BB8_304 Depth=1
	global_load_dwordx2 v[14:15], v26, s[0:1]
	s_add_i32 s19, s18, -8
.LBB8_336:                              ;   in Loop: Header=BB8_304 Depth=1
	s_add_u32 s0, s14, 8
	s_addc_u32 s1, s15, 0
	s_cmp_gt_u32 s19, 7
	s_cbranch_scc1 .LBB8_340
; %bb.337:                              ;   in Loop: Header=BB8_304 Depth=1
	s_cmp_eq_u32 s19, 0
	s_cbranch_scc1 .LBB8_341
; %bb.338:                              ;   in Loop: Header=BB8_304 Depth=1
	v_mov_b32_e32 v16, 0
	s_mov_b64 s[0:1], 0
	v_mov_b32_e32 v17, 0
	s_mov_b64 s[16:17], 0
.LBB8_339:                              ;   Parent Loop BB8_304 Depth=1
                                        ; =>  This Inner Loop Header: Depth=2
	s_add_u32 s20, s14, s16
	s_addc_u32 s21, s15, s17
	global_load_ubyte v6, v26, s[20:21]
	s_add_u32 s16, s16, 1
	s_addc_u32 s17, s17, 0
	s_waitcnt vmcnt(0)
	v_and_b32_e32 v25, 0xffff, v6
	v_lshlrev_b64 v[6:7], s0, v[25:26]
	s_add_u32 s0, s0, 8
	s_addc_u32 s1, s1, 0
	v_or_b32_e32 v16, v6, v16
	s_cmp_lg_u32 s19, s16
	v_or_b32_e32 v17, v7, v17
	s_cbranch_scc1 .LBB8_339
	s_branch .LBB8_342
.LBB8_340:                              ;   in Loop: Header=BB8_304 Depth=1
	s_mov_b32 s18, 0
	s_branch .LBB8_343
.LBB8_341:                              ;   in Loop: Header=BB8_304 Depth=1
	v_mov_b32_e32 v16, 0
	v_mov_b32_e32 v17, 0
.LBB8_342:                              ;   in Loop: Header=BB8_304 Depth=1
	s_mov_b64 s[0:1], s[14:15]
	s_mov_b32 s18, 0
	s_cbranch_execnz .LBB8_344
.LBB8_343:                              ;   in Loop: Header=BB8_304 Depth=1
	global_load_dwordx2 v[16:17], v26, s[14:15]
	s_add_i32 s18, s19, -8
.LBB8_344:                              ;   in Loop: Header=BB8_304 Depth=1
	s_add_u32 s14, s0, 8
	s_addc_u32 s15, s1, 0
	s_cmp_gt_u32 s18, 7
	s_cbranch_scc1 .LBB8_348
; %bb.345:                              ;   in Loop: Header=BB8_304 Depth=1
	s_cmp_eq_u32 s18, 0
	s_cbranch_scc1 .LBB8_349
; %bb.346:                              ;   in Loop: Header=BB8_304 Depth=1
	v_mov_b32_e32 v18, 0
	s_mov_b64 s[14:15], 0
	v_mov_b32_e32 v19, 0
	s_mov_b64 s[16:17], 0
.LBB8_347:                              ;   Parent Loop BB8_304 Depth=1
                                        ; =>  This Inner Loop Header: Depth=2
	s_add_u32 s20, s0, s16
	s_addc_u32 s21, s1, s17
	global_load_ubyte v6, v26, s[20:21]
	s_add_u32 s16, s16, 1
	s_addc_u32 s17, s17, 0
	s_waitcnt vmcnt(0)
	v_and_b32_e32 v25, 0xffff, v6
	v_lshlrev_b64 v[6:7], s14, v[25:26]
	s_add_u32 s14, s14, 8
	s_addc_u32 s15, s15, 0
	v_or_b32_e32 v18, v6, v18
	s_cmp_lg_u32 s18, s16
	v_or_b32_e32 v19, v7, v19
	s_cbranch_scc1 .LBB8_347
	s_branch .LBB8_350
.LBB8_348:                              ;   in Loop: Header=BB8_304 Depth=1
                                        ; implicit-def: $vgpr18_vgpr19
	s_mov_b32 s19, 0
	s_branch .LBB8_351
.LBB8_349:                              ;   in Loop: Header=BB8_304 Depth=1
	v_mov_b32_e32 v18, 0
	v_mov_b32_e32 v19, 0
.LBB8_350:                              ;   in Loop: Header=BB8_304 Depth=1
	s_mov_b64 s[14:15], s[0:1]
	s_mov_b32 s19, 0
	s_cbranch_execnz .LBB8_352
.LBB8_351:                              ;   in Loop: Header=BB8_304 Depth=1
	global_load_dwordx2 v[18:19], v26, s[0:1]
	s_add_i32 s19, s18, -8
.LBB8_352:                              ;   in Loop: Header=BB8_304 Depth=1
	s_cmp_gt_u32 s19, 7
	s_cbranch_scc1 .LBB8_356
; %bb.353:                              ;   in Loop: Header=BB8_304 Depth=1
	s_cmp_eq_u32 s19, 0
	s_cbranch_scc1 .LBB8_357
; %bb.354:                              ;   in Loop: Header=BB8_304 Depth=1
	v_mov_b32_e32 v20, 0
	s_mov_b64 s[0:1], 0
	v_mov_b32_e32 v21, 0
	s_mov_b64 s[16:17], s[14:15]
.LBB8_355:                              ;   Parent Loop BB8_304 Depth=1
                                        ; =>  This Inner Loop Header: Depth=2
	global_load_ubyte v6, v26, s[16:17]
	s_add_i32 s19, s19, -1
	s_waitcnt vmcnt(0)
	v_and_b32_e32 v25, 0xffff, v6
	v_lshlrev_b64 v[6:7], s0, v[25:26]
	s_add_u32 s0, s0, 8
	s_addc_u32 s1, s1, 0
	s_add_u32 s16, s16, 1
	s_addc_u32 s17, s17, 0
	v_or_b32_e32 v20, v6, v20
	s_cmp_lg_u32 s19, 0
	v_or_b32_e32 v21, v7, v21
	s_cbranch_scc1 .LBB8_355
	s_branch .LBB8_358
.LBB8_356:                              ;   in Loop: Header=BB8_304 Depth=1
	s_branch .LBB8_359
.LBB8_357:                              ;   in Loop: Header=BB8_304 Depth=1
	v_mov_b32_e32 v20, 0
	v_mov_b32_e32 v21, 0
.LBB8_358:                              ;   in Loop: Header=BB8_304 Depth=1
	s_cbranch_execnz .LBB8_360
.LBB8_359:                              ;   in Loop: Header=BB8_304 Depth=1
	global_load_dwordx2 v[20:21], v26, s[14:15]
.LBB8_360:                              ;   in Loop: Header=BB8_304 Depth=1
	v_readfirstlane_b32 s0, v30
	v_mov_b32_e32 v6, 0
	v_mov_b32_e32 v7, 0
	v_cmp_eq_u32_e64 s[0:1], s0, v30
	s_and_saveexec_b64 s[14:15], s[0:1]
	s_cbranch_execz .LBB8_366
; %bb.361:                              ;   in Loop: Header=BB8_304 Depth=1
	global_load_dwordx2 v[24:25], v26, s[2:3] offset:24 glc
	s_waitcnt vmcnt(0)
	buffer_wbinvl1_vol
	global_load_dwordx2 v[6:7], v26, s[2:3] offset:40
	global_load_dwordx2 v[22:23], v26, s[2:3]
	s_waitcnt vmcnt(1)
	v_and_b32_e32 v6, v6, v24
	v_and_b32_e32 v7, v7, v25
	v_mul_lo_u32 v7, v7, 24
	v_mul_hi_u32 v27, v6, 24
	v_mul_lo_u32 v6, v6, 24
	v_add_u32_e32 v7, v27, v7
	s_waitcnt vmcnt(0)
	v_add_co_u32_e32 v6, vcc, v22, v6
	v_addc_co_u32_e32 v7, vcc, v23, v7, vcc
	global_load_dwordx2 v[22:23], v[6:7], off glc
	s_waitcnt vmcnt(0)
	global_atomic_cmpswap_x2 v[6:7], v26, v[22:25], s[2:3] offset:24 glc
	s_waitcnt vmcnt(0)
	buffer_wbinvl1_vol
	v_cmp_ne_u64_e32 vcc, v[6:7], v[24:25]
	s_and_saveexec_b64 s[16:17], vcc
	s_cbranch_execz .LBB8_365
; %bb.362:                              ;   in Loop: Header=BB8_304 Depth=1
	s_mov_b64 s[18:19], 0
.LBB8_363:                              ;   Parent Loop BB8_304 Depth=1
                                        ; =>  This Inner Loop Header: Depth=2
	s_sleep 1
	global_load_dwordx2 v[22:23], v26, s[2:3] offset:40
	global_load_dwordx2 v[27:28], v26, s[2:3]
	v_mov_b32_e32 v25, v7
	v_mov_b32_e32 v24, v6
	s_waitcnt vmcnt(1)
	v_and_b32_e32 v6, v22, v24
	s_waitcnt vmcnt(0)
	v_mad_u64_u32 v[6:7], s[20:21], v6, 24, v[27:28]
	v_and_b32_e32 v22, v23, v25
	v_mad_u64_u32 v[22:23], s[20:21], v22, 24, v[7:8]
	v_mov_b32_e32 v7, v22
	global_load_dwordx2 v[22:23], v[6:7], off glc
	s_waitcnt vmcnt(0)
	global_atomic_cmpswap_x2 v[6:7], v26, v[22:25], s[2:3] offset:24 glc
	s_waitcnt vmcnt(0)
	buffer_wbinvl1_vol
	v_cmp_eq_u64_e32 vcc, v[6:7], v[24:25]
	s_or_b64 s[18:19], vcc, s[18:19]
	s_andn2_b64 exec, exec, s[18:19]
	s_cbranch_execnz .LBB8_363
; %bb.364:                              ;   in Loop: Header=BB8_304 Depth=1
	s_or_b64 exec, exec, s[18:19]
.LBB8_365:                              ;   in Loop: Header=BB8_304 Depth=1
	s_or_b64 exec, exec, s[16:17]
.LBB8_366:                              ;   in Loop: Header=BB8_304 Depth=1
	s_or_b64 exec, exec, s[14:15]
	global_load_dwordx2 v[27:28], v26, s[2:3] offset:40
	global_load_dwordx4 v[22:25], v26, s[2:3]
	v_readfirstlane_b32 s15, v7
	v_readfirstlane_b32 s14, v6
	s_mov_b64 s[16:17], exec
	s_waitcnt vmcnt(1)
	v_readfirstlane_b32 s18, v27
	v_readfirstlane_b32 s19, v28
	s_and_b64 s[18:19], s[18:19], s[14:15]
	s_mul_i32 s20, s19, 24
	s_mul_hi_u32 s21, s18, 24
	s_mul_i32 s22, s18, 24
	s_add_i32 s20, s21, s20
	v_mov_b32_e32 v6, s20
	s_waitcnt vmcnt(0)
	v_add_co_u32_e32 v27, vcc, s22, v22
	v_addc_co_u32_e32 v28, vcc, v23, v6, vcc
	s_and_saveexec_b64 s[20:21], s[0:1]
	s_cbranch_execz .LBB8_368
; %bb.367:                              ;   in Loop: Header=BB8_304 Depth=1
	v_mov_b32_e32 v6, s16
	v_mov_b32_e32 v7, s17
	global_store_dwordx4 v[27:28], v[6:9], off offset:8
.LBB8_368:                              ;   in Loop: Header=BB8_304 Depth=1
	s_or_b64 exec, exec, s[20:21]
	s_lshl_b64 s[16:17], s[18:19], 12
	v_mov_b32_e32 v6, s17
	v_add_co_u32_e32 v24, vcc, s16, v24
	v_addc_co_u32_e32 v32, vcc, v25, v6, vcc
	v_cmp_lt_u64_e64 vcc, s[10:11], 57
	s_lshl_b32 s16, s12, 2
	v_cndmask_b32_e32 v6, 0, v31, vcc
	s_add_i32 s16, s16, 28
	v_and_b32_e32 v0, 0xffffff1f, v0
	s_and_b32 s16, s16, 0x1e0
	v_or_b32_e32 v0, v0, v6
	v_or_b32_e32 v0, s16, v0
	v_readfirstlane_b32 s16, v24
	v_readfirstlane_b32 s17, v32
	s_nop 4
	global_store_dwordx4 v29, v[0:3], s[16:17]
	global_store_dwordx4 v29, v[10:13], s[16:17] offset:16
	global_store_dwordx4 v29, v[14:17], s[16:17] offset:32
	global_store_dwordx4 v29, v[18:21], s[16:17] offset:48
	s_and_saveexec_b64 s[16:17], s[0:1]
	s_cbranch_execz .LBB8_376
; %bb.369:                              ;   in Loop: Header=BB8_304 Depth=1
	global_load_dwordx2 v[12:13], v26, s[2:3] offset:32 glc
	global_load_dwordx2 v[0:1], v26, s[2:3] offset:40
	v_mov_b32_e32 v10, s14
	v_mov_b32_e32 v11, s15
	s_waitcnt vmcnt(0)
	v_readfirstlane_b32 s18, v0
	v_readfirstlane_b32 s19, v1
	s_and_b64 s[18:19], s[18:19], s[14:15]
	s_mul_i32 s19, s19, 24
	s_mul_hi_u32 s20, s18, 24
	s_mul_i32 s18, s18, 24
	s_add_i32 s19, s20, s19
	v_mov_b32_e32 v0, s19
	v_add_co_u32_e32 v6, vcc, s18, v22
	v_addc_co_u32_e32 v7, vcc, v23, v0, vcc
	global_store_dwordx2 v[6:7], v[12:13], off
	s_waitcnt vmcnt(0)
	global_atomic_cmpswap_x2 v[2:3], v26, v[10:13], s[2:3] offset:32 glc
	s_waitcnt vmcnt(0)
	v_cmp_ne_u64_e32 vcc, v[2:3], v[12:13]
	s_and_saveexec_b64 s[18:19], vcc
	s_cbranch_execz .LBB8_372
; %bb.370:                              ;   in Loop: Header=BB8_304 Depth=1
	s_mov_b64 s[20:21], 0
.LBB8_371:                              ;   Parent Loop BB8_304 Depth=1
                                        ; =>  This Inner Loop Header: Depth=2
	s_sleep 1
	global_store_dwordx2 v[6:7], v[2:3], off
	v_mov_b32_e32 v0, s14
	v_mov_b32_e32 v1, s15
	s_waitcnt vmcnt(0)
	global_atomic_cmpswap_x2 v[0:1], v26, v[0:3], s[2:3] offset:32 glc
	s_waitcnt vmcnt(0)
	v_cmp_eq_u64_e32 vcc, v[0:1], v[2:3]
	v_mov_b32_e32 v3, v1
	s_or_b64 s[20:21], vcc, s[20:21]
	v_mov_b32_e32 v2, v0
	s_andn2_b64 exec, exec, s[20:21]
	s_cbranch_execnz .LBB8_371
.LBB8_372:                              ;   in Loop: Header=BB8_304 Depth=1
	s_or_b64 exec, exec, s[18:19]
	global_load_dwordx2 v[0:1], v26, s[2:3] offset:16
	s_mov_b64 s[20:21], exec
	v_mbcnt_lo_u32_b32 v2, s20, 0
	v_mbcnt_hi_u32_b32 v2, s21, v2
	v_cmp_eq_u32_e32 vcc, 0, v2
	s_and_saveexec_b64 s[18:19], vcc
	s_cbranch_execz .LBB8_374
; %bb.373:                              ;   in Loop: Header=BB8_304 Depth=1
	s_bcnt1_i32_b64 s20, s[20:21]
	v_mov_b32_e32 v25, s20
	s_waitcnt vmcnt(0)
	global_atomic_add_x2 v[0:1], v[25:26], off offset:8
.LBB8_374:                              ;   in Loop: Header=BB8_304 Depth=1
	s_or_b64 exec, exec, s[18:19]
	s_waitcnt vmcnt(0)
	global_load_dwordx2 v[2:3], v[0:1], off offset:16
	s_waitcnt vmcnt(0)
	v_cmp_eq_u64_e32 vcc, 0, v[2:3]
	s_cbranch_vccnz .LBB8_376
; %bb.375:                              ;   in Loop: Header=BB8_304 Depth=1
	global_load_dword v25, v[0:1], off offset:24
	s_waitcnt vmcnt(0)
	v_readfirstlane_b32 s18, v25
	s_and_b32 m0, s18, 0xffffff
	global_store_dwordx2 v[2:3], v[25:26], off
	s_sendmsg sendmsg(MSG_INTERRUPT)
.LBB8_376:                              ;   in Loop: Header=BB8_304 Depth=1
	s_or_b64 exec, exec, s[16:17]
	v_add_co_u32_e32 v0, vcc, v24, v29
	v_addc_co_u32_e32 v1, vcc, 0, v32, vcc
	s_branch .LBB8_380
.LBB8_377:                              ;   in Loop: Header=BB8_380 Depth=2
	s_or_b64 exec, exec, s[16:17]
	v_readfirstlane_b32 s16, v2
	s_cmp_eq_u32 s16, 0
	s_cbranch_scc1 .LBB8_379
; %bb.378:                              ;   in Loop: Header=BB8_380 Depth=2
	s_sleep 1
	s_cbranch_execnz .LBB8_380
	s_branch .LBB8_382
.LBB8_379:                              ;   in Loop: Header=BB8_304 Depth=1
	s_branch .LBB8_382
.LBB8_380:                              ;   Parent Loop BB8_304 Depth=1
                                        ; =>  This Inner Loop Header: Depth=2
	v_mov_b32_e32 v2, 1
	s_and_saveexec_b64 s[16:17], s[0:1]
	s_cbranch_execz .LBB8_377
; %bb.381:                              ;   in Loop: Header=BB8_380 Depth=2
	global_load_dword v2, v[27:28], off offset:20 glc
	s_waitcnt vmcnt(0)
	buffer_wbinvl1_vol
	v_and_b32_e32 v2, 1, v2
	s_branch .LBB8_377
.LBB8_382:                              ;   in Loop: Header=BB8_304 Depth=1
	global_load_dwordx2 v[0:1], v[0:1], off
	s_and_saveexec_b64 s[16:17], s[0:1]
	s_cbranch_execz .LBB8_303
; %bb.383:                              ;   in Loop: Header=BB8_304 Depth=1
	global_load_dwordx2 v[2:3], v26, s[2:3] offset:40
	global_load_dwordx2 v[14:15], v26, s[2:3] offset:24 glc
	global_load_dwordx2 v[6:7], v26, s[2:3]
	s_waitcnt vmcnt(2)
	v_readfirstlane_b32 s18, v2
	v_readfirstlane_b32 s19, v3
	s_add_u32 s20, s18, 1
	s_addc_u32 s21, s19, 0
	s_add_u32 s0, s20, s14
	s_addc_u32 s1, s21, s15
	s_cmp_eq_u64 s[0:1], 0
	s_cselect_b32 s1, s21, s1
	s_cselect_b32 s0, s20, s0
	s_and_b64 s[14:15], s[0:1], s[18:19]
	s_mul_i32 s15, s15, 24
	s_mul_hi_u32 s18, s14, 24
	s_mul_i32 s14, s14, 24
	s_add_i32 s15, s18, s15
	v_mov_b32_e32 v3, s15
	s_waitcnt vmcnt(0)
	v_add_co_u32_e32 v2, vcc, s14, v6
	v_addc_co_u32_e32 v3, vcc, v7, v3, vcc
	v_mov_b32_e32 v12, s0
	global_store_dwordx2 v[2:3], v[14:15], off
	v_mov_b32_e32 v13, s1
	s_waitcnt vmcnt(0)
	global_atomic_cmpswap_x2 v[12:13], v26, v[12:15], s[2:3] offset:24 glc
	s_waitcnt vmcnt(0)
	v_cmp_ne_u64_e32 vcc, v[12:13], v[14:15]
	s_and_b64 exec, exec, vcc
	s_cbranch_execz .LBB8_303
; %bb.384:                              ;   in Loop: Header=BB8_304 Depth=1
	s_mov_b64 s[14:15], 0
.LBB8_385:                              ;   Parent Loop BB8_304 Depth=1
                                        ; =>  This Inner Loop Header: Depth=2
	s_sleep 1
	global_store_dwordx2 v[2:3], v[12:13], off
	v_mov_b32_e32 v10, s0
	v_mov_b32_e32 v11, s1
	s_waitcnt vmcnt(0)
	global_atomic_cmpswap_x2 v[6:7], v26, v[10:13], s[2:3] offset:24 glc
	s_waitcnt vmcnt(0)
	v_cmp_eq_u64_e32 vcc, v[6:7], v[12:13]
	v_mov_b32_e32 v13, v7
	s_or_b64 s[14:15], vcc, s[14:15]
	v_mov_b32_e32 v12, v6
	s_andn2_b64 exec, exec, s[14:15]
	s_cbranch_execnz .LBB8_385
	s_branch .LBB8_303
.LBB8_386:
.LBB8_387:
	s_and_b64 vcc, exec, s[6:7]
	s_cbranch_vccz .LBB8_500
.LBB8_388:
	s_waitcnt vmcnt(0)
	v_and_b32_e32 v31, 2, v0
	v_mov_b32_e32 v26, 0
	v_and_b32_e32 v2, -3, v0
	v_mov_b32_e32 v3, v1
	s_mov_b64 s[10:11], 52
	v_mov_b32_e32 v8, 2
	v_mov_b32_e32 v9, 1
	s_getpc_b64 s[8:9]
	s_add_u32 s8, s8, .str.10@rel32@lo+4
	s_addc_u32 s9, s9, .str.10@rel32@hi+12
	s_branch .LBB8_390
.LBB8_389:                              ;   in Loop: Header=BB8_390 Depth=1
	s_or_b64 exec, exec, s[16:17]
	s_sub_u32 s10, s10, s12
	s_subb_u32 s11, s11, s13
	s_add_u32 s8, s8, s12
	s_addc_u32 s9, s9, s13
	s_cmp_lg_u64 s[10:11], 0
	s_cbranch_scc0 .LBB8_472
.LBB8_390:                              ; =>This Loop Header: Depth=1
                                        ;     Child Loop BB8_393 Depth 2
                                        ;     Child Loop BB8_401 Depth 2
	;; [unrolled: 1-line block ×11, first 2 shown]
	v_cmp_lt_u64_e64 s[0:1], s[10:11], 56
	v_cmp_gt_u64_e64 s[14:15], s[10:11], 7
	s_and_b64 s[0:1], s[0:1], exec
	s_cselect_b32 s13, s11, 0
	s_cselect_b32 s12, s10, 56
	s_add_u32 s0, s8, 8
	s_addc_u32 s1, s9, 0
	s_and_b64 vcc, exec, s[14:15]
	s_cbranch_vccnz .LBB8_394
; %bb.391:                              ;   in Loop: Header=BB8_390 Depth=1
	s_cmp_eq_u64 s[10:11], 0
	s_cbranch_scc1 .LBB8_395
; %bb.392:                              ;   in Loop: Header=BB8_390 Depth=1
	v_mov_b32_e32 v4, 0
	s_lshl_b64 s[0:1], s[12:13], 3
	s_mov_b64 s[14:15], 0
	v_mov_b32_e32 v5, 0
	s_mov_b64 s[16:17], s[8:9]
.LBB8_393:                              ;   Parent Loop BB8_390 Depth=1
                                        ; =>  This Inner Loop Header: Depth=2
	global_load_ubyte v6, v26, s[16:17]
	s_waitcnt vmcnt(0)
	v_and_b32_e32 v25, 0xffff, v6
	v_lshlrev_b64 v[6:7], s14, v[25:26]
	s_add_u32 s14, s14, 8
	s_addc_u32 s15, s15, 0
	s_add_u32 s16, s16, 1
	s_addc_u32 s17, s17, 0
	v_or_b32_e32 v4, v6, v4
	s_cmp_lg_u32 s0, s14
	v_or_b32_e32 v5, v7, v5
	s_cbranch_scc1 .LBB8_393
	s_branch .LBB8_396
.LBB8_394:                              ;   in Loop: Header=BB8_390 Depth=1
	s_mov_b32 s18, 0
	s_branch .LBB8_397
.LBB8_395:                              ;   in Loop: Header=BB8_390 Depth=1
	v_mov_b32_e32 v4, 0
	v_mov_b32_e32 v5, 0
.LBB8_396:                              ;   in Loop: Header=BB8_390 Depth=1
	s_mov_b64 s[0:1], s[8:9]
	s_mov_b32 s18, 0
	s_cbranch_execnz .LBB8_398
.LBB8_397:                              ;   in Loop: Header=BB8_390 Depth=1
	global_load_dwordx2 v[4:5], v26, s[8:9]
	s_add_i32 s18, s12, -8
.LBB8_398:                              ;   in Loop: Header=BB8_390 Depth=1
	s_add_u32 s14, s0, 8
	s_addc_u32 s15, s1, 0
	s_cmp_gt_u32 s18, 7
	s_cbranch_scc1 .LBB8_402
; %bb.399:                              ;   in Loop: Header=BB8_390 Depth=1
	s_cmp_eq_u32 s18, 0
	s_cbranch_scc1 .LBB8_403
; %bb.400:                              ;   in Loop: Header=BB8_390 Depth=1
	v_mov_b32_e32 v10, 0
	s_mov_b64 s[14:15], 0
	v_mov_b32_e32 v11, 0
	s_mov_b64 s[16:17], 0
.LBB8_401:                              ;   Parent Loop BB8_390 Depth=1
                                        ; =>  This Inner Loop Header: Depth=2
	s_add_u32 s20, s0, s16
	s_addc_u32 s21, s1, s17
	global_load_ubyte v6, v26, s[20:21]
	s_add_u32 s16, s16, 1
	s_addc_u32 s17, s17, 0
	s_waitcnt vmcnt(0)
	v_and_b32_e32 v25, 0xffff, v6
	v_lshlrev_b64 v[6:7], s14, v[25:26]
	s_add_u32 s14, s14, 8
	s_addc_u32 s15, s15, 0
	v_or_b32_e32 v10, v6, v10
	s_cmp_lg_u32 s18, s16
	v_or_b32_e32 v11, v7, v11
	s_cbranch_scc1 .LBB8_401
	s_branch .LBB8_404
.LBB8_402:                              ;   in Loop: Header=BB8_390 Depth=1
                                        ; implicit-def: $vgpr10_vgpr11
	s_mov_b32 s19, 0
	s_branch .LBB8_405
.LBB8_403:                              ;   in Loop: Header=BB8_390 Depth=1
	v_mov_b32_e32 v10, 0
	v_mov_b32_e32 v11, 0
.LBB8_404:                              ;   in Loop: Header=BB8_390 Depth=1
	s_mov_b64 s[14:15], s[0:1]
	s_mov_b32 s19, 0
	s_cbranch_execnz .LBB8_406
.LBB8_405:                              ;   in Loop: Header=BB8_390 Depth=1
	global_load_dwordx2 v[10:11], v26, s[0:1]
	s_add_i32 s19, s18, -8
.LBB8_406:                              ;   in Loop: Header=BB8_390 Depth=1
	s_add_u32 s0, s14, 8
	s_addc_u32 s1, s15, 0
	s_cmp_gt_u32 s19, 7
	s_cbranch_scc1 .LBB8_410
; %bb.407:                              ;   in Loop: Header=BB8_390 Depth=1
	s_cmp_eq_u32 s19, 0
	s_cbranch_scc1 .LBB8_411
; %bb.408:                              ;   in Loop: Header=BB8_390 Depth=1
	v_mov_b32_e32 v12, 0
	s_mov_b64 s[0:1], 0
	v_mov_b32_e32 v13, 0
	s_mov_b64 s[16:17], 0
.LBB8_409:                              ;   Parent Loop BB8_390 Depth=1
                                        ; =>  This Inner Loop Header: Depth=2
	s_add_u32 s20, s14, s16
	s_addc_u32 s21, s15, s17
	global_load_ubyte v6, v26, s[20:21]
	s_add_u32 s16, s16, 1
	s_addc_u32 s17, s17, 0
	s_waitcnt vmcnt(0)
	v_and_b32_e32 v25, 0xffff, v6
	v_lshlrev_b64 v[6:7], s0, v[25:26]
	s_add_u32 s0, s0, 8
	s_addc_u32 s1, s1, 0
	v_or_b32_e32 v12, v6, v12
	s_cmp_lg_u32 s19, s16
	v_or_b32_e32 v13, v7, v13
	s_cbranch_scc1 .LBB8_409
	s_branch .LBB8_412
.LBB8_410:                              ;   in Loop: Header=BB8_390 Depth=1
	s_mov_b32 s18, 0
	s_branch .LBB8_413
.LBB8_411:                              ;   in Loop: Header=BB8_390 Depth=1
	v_mov_b32_e32 v12, 0
	v_mov_b32_e32 v13, 0
.LBB8_412:                              ;   in Loop: Header=BB8_390 Depth=1
	s_mov_b64 s[0:1], s[14:15]
	s_mov_b32 s18, 0
	s_cbranch_execnz .LBB8_414
.LBB8_413:                              ;   in Loop: Header=BB8_390 Depth=1
	global_load_dwordx2 v[12:13], v26, s[14:15]
	s_add_i32 s18, s19, -8
.LBB8_414:                              ;   in Loop: Header=BB8_390 Depth=1
	s_add_u32 s14, s0, 8
	s_addc_u32 s15, s1, 0
	s_cmp_gt_u32 s18, 7
	s_cbranch_scc1 .LBB8_418
; %bb.415:                              ;   in Loop: Header=BB8_390 Depth=1
	s_cmp_eq_u32 s18, 0
	s_cbranch_scc1 .LBB8_419
; %bb.416:                              ;   in Loop: Header=BB8_390 Depth=1
	v_mov_b32_e32 v14, 0
	s_mov_b64 s[14:15], 0
	v_mov_b32_e32 v15, 0
	s_mov_b64 s[16:17], 0
.LBB8_417:                              ;   Parent Loop BB8_390 Depth=1
                                        ; =>  This Inner Loop Header: Depth=2
	s_add_u32 s20, s0, s16
	s_addc_u32 s21, s1, s17
	global_load_ubyte v6, v26, s[20:21]
	s_add_u32 s16, s16, 1
	s_addc_u32 s17, s17, 0
	s_waitcnt vmcnt(0)
	v_and_b32_e32 v25, 0xffff, v6
	v_lshlrev_b64 v[6:7], s14, v[25:26]
	s_add_u32 s14, s14, 8
	s_addc_u32 s15, s15, 0
	v_or_b32_e32 v14, v6, v14
	s_cmp_lg_u32 s18, s16
	v_or_b32_e32 v15, v7, v15
	s_cbranch_scc1 .LBB8_417
	s_branch .LBB8_420
.LBB8_418:                              ;   in Loop: Header=BB8_390 Depth=1
                                        ; implicit-def: $vgpr14_vgpr15
	s_mov_b32 s19, 0
	s_branch .LBB8_421
.LBB8_419:                              ;   in Loop: Header=BB8_390 Depth=1
	v_mov_b32_e32 v14, 0
	v_mov_b32_e32 v15, 0
.LBB8_420:                              ;   in Loop: Header=BB8_390 Depth=1
	s_mov_b64 s[14:15], s[0:1]
	s_mov_b32 s19, 0
	s_cbranch_execnz .LBB8_422
.LBB8_421:                              ;   in Loop: Header=BB8_390 Depth=1
	global_load_dwordx2 v[14:15], v26, s[0:1]
	s_add_i32 s19, s18, -8
.LBB8_422:                              ;   in Loop: Header=BB8_390 Depth=1
	s_add_u32 s0, s14, 8
	s_addc_u32 s1, s15, 0
	s_cmp_gt_u32 s19, 7
	s_cbranch_scc1 .LBB8_426
; %bb.423:                              ;   in Loop: Header=BB8_390 Depth=1
	s_cmp_eq_u32 s19, 0
	s_cbranch_scc1 .LBB8_427
; %bb.424:                              ;   in Loop: Header=BB8_390 Depth=1
	v_mov_b32_e32 v16, 0
	s_mov_b64 s[0:1], 0
	v_mov_b32_e32 v17, 0
	s_mov_b64 s[16:17], 0
.LBB8_425:                              ;   Parent Loop BB8_390 Depth=1
                                        ; =>  This Inner Loop Header: Depth=2
	s_add_u32 s20, s14, s16
	s_addc_u32 s21, s15, s17
	global_load_ubyte v6, v26, s[20:21]
	s_add_u32 s16, s16, 1
	s_addc_u32 s17, s17, 0
	s_waitcnt vmcnt(0)
	v_and_b32_e32 v25, 0xffff, v6
	v_lshlrev_b64 v[6:7], s0, v[25:26]
	s_add_u32 s0, s0, 8
	s_addc_u32 s1, s1, 0
	v_or_b32_e32 v16, v6, v16
	s_cmp_lg_u32 s19, s16
	v_or_b32_e32 v17, v7, v17
	s_cbranch_scc1 .LBB8_425
	s_branch .LBB8_428
.LBB8_426:                              ;   in Loop: Header=BB8_390 Depth=1
	s_mov_b32 s18, 0
	s_branch .LBB8_429
.LBB8_427:                              ;   in Loop: Header=BB8_390 Depth=1
	v_mov_b32_e32 v16, 0
	v_mov_b32_e32 v17, 0
.LBB8_428:                              ;   in Loop: Header=BB8_390 Depth=1
	s_mov_b64 s[0:1], s[14:15]
	s_mov_b32 s18, 0
	s_cbranch_execnz .LBB8_430
.LBB8_429:                              ;   in Loop: Header=BB8_390 Depth=1
	global_load_dwordx2 v[16:17], v26, s[14:15]
	s_add_i32 s18, s19, -8
.LBB8_430:                              ;   in Loop: Header=BB8_390 Depth=1
	s_add_u32 s14, s0, 8
	s_addc_u32 s15, s1, 0
	s_cmp_gt_u32 s18, 7
	s_cbranch_scc1 .LBB8_434
; %bb.431:                              ;   in Loop: Header=BB8_390 Depth=1
	s_cmp_eq_u32 s18, 0
	s_cbranch_scc1 .LBB8_435
; %bb.432:                              ;   in Loop: Header=BB8_390 Depth=1
	v_mov_b32_e32 v18, 0
	s_mov_b64 s[14:15], 0
	v_mov_b32_e32 v19, 0
	s_mov_b64 s[16:17], 0
.LBB8_433:                              ;   Parent Loop BB8_390 Depth=1
                                        ; =>  This Inner Loop Header: Depth=2
	s_add_u32 s20, s0, s16
	s_addc_u32 s21, s1, s17
	global_load_ubyte v6, v26, s[20:21]
	s_add_u32 s16, s16, 1
	s_addc_u32 s17, s17, 0
	s_waitcnt vmcnt(0)
	v_and_b32_e32 v25, 0xffff, v6
	v_lshlrev_b64 v[6:7], s14, v[25:26]
	s_add_u32 s14, s14, 8
	s_addc_u32 s15, s15, 0
	v_or_b32_e32 v18, v6, v18
	s_cmp_lg_u32 s18, s16
	v_or_b32_e32 v19, v7, v19
	s_cbranch_scc1 .LBB8_433
	s_branch .LBB8_436
.LBB8_434:                              ;   in Loop: Header=BB8_390 Depth=1
                                        ; implicit-def: $vgpr18_vgpr19
	s_mov_b32 s19, 0
	s_branch .LBB8_437
.LBB8_435:                              ;   in Loop: Header=BB8_390 Depth=1
	v_mov_b32_e32 v18, 0
	v_mov_b32_e32 v19, 0
.LBB8_436:                              ;   in Loop: Header=BB8_390 Depth=1
	s_mov_b64 s[14:15], s[0:1]
	s_mov_b32 s19, 0
	s_cbranch_execnz .LBB8_438
.LBB8_437:                              ;   in Loop: Header=BB8_390 Depth=1
	global_load_dwordx2 v[18:19], v26, s[0:1]
	s_add_i32 s19, s18, -8
.LBB8_438:                              ;   in Loop: Header=BB8_390 Depth=1
	s_cmp_gt_u32 s19, 7
	s_cbranch_scc1 .LBB8_442
; %bb.439:                              ;   in Loop: Header=BB8_390 Depth=1
	s_cmp_eq_u32 s19, 0
	s_cbranch_scc1 .LBB8_443
; %bb.440:                              ;   in Loop: Header=BB8_390 Depth=1
	v_mov_b32_e32 v20, 0
	s_mov_b64 s[0:1], 0
	v_mov_b32_e32 v21, 0
	s_mov_b64 s[16:17], s[14:15]
.LBB8_441:                              ;   Parent Loop BB8_390 Depth=1
                                        ; =>  This Inner Loop Header: Depth=2
	global_load_ubyte v6, v26, s[16:17]
	s_add_i32 s19, s19, -1
	s_waitcnt vmcnt(0)
	v_and_b32_e32 v25, 0xffff, v6
	v_lshlrev_b64 v[6:7], s0, v[25:26]
	s_add_u32 s0, s0, 8
	s_addc_u32 s1, s1, 0
	s_add_u32 s16, s16, 1
	s_addc_u32 s17, s17, 0
	v_or_b32_e32 v20, v6, v20
	s_cmp_lg_u32 s19, 0
	v_or_b32_e32 v21, v7, v21
	s_cbranch_scc1 .LBB8_441
	s_branch .LBB8_444
.LBB8_442:                              ;   in Loop: Header=BB8_390 Depth=1
	s_branch .LBB8_445
.LBB8_443:                              ;   in Loop: Header=BB8_390 Depth=1
	v_mov_b32_e32 v20, 0
	v_mov_b32_e32 v21, 0
.LBB8_444:                              ;   in Loop: Header=BB8_390 Depth=1
	s_cbranch_execnz .LBB8_446
.LBB8_445:                              ;   in Loop: Header=BB8_390 Depth=1
	global_load_dwordx2 v[20:21], v26, s[14:15]
.LBB8_446:                              ;   in Loop: Header=BB8_390 Depth=1
	v_readfirstlane_b32 s0, v30
	v_mov_b32_e32 v6, 0
	v_mov_b32_e32 v7, 0
	v_cmp_eq_u32_e64 s[0:1], s0, v30
	s_and_saveexec_b64 s[14:15], s[0:1]
	s_cbranch_execz .LBB8_452
; %bb.447:                              ;   in Loop: Header=BB8_390 Depth=1
	global_load_dwordx2 v[24:25], v26, s[2:3] offset:24 glc
	s_waitcnt vmcnt(0)
	buffer_wbinvl1_vol
	global_load_dwordx2 v[6:7], v26, s[2:3] offset:40
	global_load_dwordx2 v[22:23], v26, s[2:3]
	s_waitcnt vmcnt(1)
	v_and_b32_e32 v6, v6, v24
	v_and_b32_e32 v7, v7, v25
	v_mul_lo_u32 v7, v7, 24
	v_mul_hi_u32 v27, v6, 24
	v_mul_lo_u32 v6, v6, 24
	v_add_u32_e32 v7, v27, v7
	s_waitcnt vmcnt(0)
	v_add_co_u32_e32 v6, vcc, v22, v6
	v_addc_co_u32_e32 v7, vcc, v23, v7, vcc
	global_load_dwordx2 v[22:23], v[6:7], off glc
	s_waitcnt vmcnt(0)
	global_atomic_cmpswap_x2 v[6:7], v26, v[22:25], s[2:3] offset:24 glc
	s_waitcnt vmcnt(0)
	buffer_wbinvl1_vol
	v_cmp_ne_u64_e32 vcc, v[6:7], v[24:25]
	s_and_saveexec_b64 s[16:17], vcc
	s_cbranch_execz .LBB8_451
; %bb.448:                              ;   in Loop: Header=BB8_390 Depth=1
	s_mov_b64 s[18:19], 0
.LBB8_449:                              ;   Parent Loop BB8_390 Depth=1
                                        ; =>  This Inner Loop Header: Depth=2
	s_sleep 1
	global_load_dwordx2 v[22:23], v26, s[2:3] offset:40
	global_load_dwordx2 v[27:28], v26, s[2:3]
	v_mov_b32_e32 v25, v7
	v_mov_b32_e32 v24, v6
	s_waitcnt vmcnt(1)
	v_and_b32_e32 v6, v22, v24
	s_waitcnt vmcnt(0)
	v_mad_u64_u32 v[6:7], s[20:21], v6, 24, v[27:28]
	v_and_b32_e32 v22, v23, v25
	v_mad_u64_u32 v[22:23], s[20:21], v22, 24, v[7:8]
	v_mov_b32_e32 v7, v22
	global_load_dwordx2 v[22:23], v[6:7], off glc
	s_waitcnt vmcnt(0)
	global_atomic_cmpswap_x2 v[6:7], v26, v[22:25], s[2:3] offset:24 glc
	s_waitcnt vmcnt(0)
	buffer_wbinvl1_vol
	v_cmp_eq_u64_e32 vcc, v[6:7], v[24:25]
	s_or_b64 s[18:19], vcc, s[18:19]
	s_andn2_b64 exec, exec, s[18:19]
	s_cbranch_execnz .LBB8_449
; %bb.450:                              ;   in Loop: Header=BB8_390 Depth=1
	s_or_b64 exec, exec, s[18:19]
.LBB8_451:                              ;   in Loop: Header=BB8_390 Depth=1
	s_or_b64 exec, exec, s[16:17]
.LBB8_452:                              ;   in Loop: Header=BB8_390 Depth=1
	s_or_b64 exec, exec, s[14:15]
	global_load_dwordx2 v[27:28], v26, s[2:3] offset:40
	global_load_dwordx4 v[22:25], v26, s[2:3]
	v_readfirstlane_b32 s15, v7
	v_readfirstlane_b32 s14, v6
	s_mov_b64 s[16:17], exec
	s_waitcnt vmcnt(1)
	v_readfirstlane_b32 s18, v27
	v_readfirstlane_b32 s19, v28
	s_and_b64 s[18:19], s[18:19], s[14:15]
	s_mul_i32 s20, s19, 24
	s_mul_hi_u32 s21, s18, 24
	s_mul_i32 s22, s18, 24
	s_add_i32 s20, s21, s20
	v_mov_b32_e32 v6, s20
	s_waitcnt vmcnt(0)
	v_add_co_u32_e32 v27, vcc, s22, v22
	v_addc_co_u32_e32 v28, vcc, v23, v6, vcc
	s_and_saveexec_b64 s[20:21], s[0:1]
	s_cbranch_execz .LBB8_454
; %bb.453:                              ;   in Loop: Header=BB8_390 Depth=1
	v_mov_b32_e32 v6, s16
	v_mov_b32_e32 v7, s17
	global_store_dwordx4 v[27:28], v[6:9], off offset:8
.LBB8_454:                              ;   in Loop: Header=BB8_390 Depth=1
	s_or_b64 exec, exec, s[20:21]
	s_lshl_b64 s[16:17], s[18:19], 12
	v_mov_b32_e32 v6, s17
	v_add_co_u32_e32 v24, vcc, s16, v24
	v_addc_co_u32_e32 v32, vcc, v25, v6, vcc
	v_cmp_lt_u64_e64 vcc, s[10:11], 57
	s_lshl_b32 s16, s12, 2
	v_cndmask_b32_e32 v6, 0, v31, vcc
	s_add_i32 s16, s16, 28
	v_and_b32_e32 v2, 0xffffff1f, v2
	s_and_b32 s16, s16, 0x1e0
	v_or_b32_e32 v2, v2, v6
	v_or_b32_e32 v2, s16, v2
	v_readfirstlane_b32 s16, v24
	v_readfirstlane_b32 s17, v32
	s_nop 4
	global_store_dwordx4 v29, v[2:5], s[16:17]
	global_store_dwordx4 v29, v[10:13], s[16:17] offset:16
	global_store_dwordx4 v29, v[14:17], s[16:17] offset:32
	;; [unrolled: 1-line block ×3, first 2 shown]
	s_and_saveexec_b64 s[16:17], s[0:1]
	s_cbranch_execz .LBB8_462
; %bb.455:                              ;   in Loop: Header=BB8_390 Depth=1
	global_load_dwordx2 v[12:13], v26, s[2:3] offset:32 glc
	global_load_dwordx2 v[2:3], v26, s[2:3] offset:40
	v_mov_b32_e32 v10, s14
	v_mov_b32_e32 v11, s15
	s_waitcnt vmcnt(0)
	v_readfirstlane_b32 s18, v2
	v_readfirstlane_b32 s19, v3
	s_and_b64 s[18:19], s[18:19], s[14:15]
	s_mul_i32 s19, s19, 24
	s_mul_hi_u32 s20, s18, 24
	s_mul_i32 s18, s18, 24
	s_add_i32 s19, s20, s19
	v_mov_b32_e32 v2, s19
	v_add_co_u32_e32 v6, vcc, s18, v22
	v_addc_co_u32_e32 v7, vcc, v23, v2, vcc
	global_store_dwordx2 v[6:7], v[12:13], off
	s_waitcnt vmcnt(0)
	global_atomic_cmpswap_x2 v[4:5], v26, v[10:13], s[2:3] offset:32 glc
	s_waitcnt vmcnt(0)
	v_cmp_ne_u64_e32 vcc, v[4:5], v[12:13]
	s_and_saveexec_b64 s[18:19], vcc
	s_cbranch_execz .LBB8_458
; %bb.456:                              ;   in Loop: Header=BB8_390 Depth=1
	s_mov_b64 s[20:21], 0
.LBB8_457:                              ;   Parent Loop BB8_390 Depth=1
                                        ; =>  This Inner Loop Header: Depth=2
	s_sleep 1
	global_store_dwordx2 v[6:7], v[4:5], off
	v_mov_b32_e32 v2, s14
	v_mov_b32_e32 v3, s15
	s_waitcnt vmcnt(0)
	global_atomic_cmpswap_x2 v[2:3], v26, v[2:5], s[2:3] offset:32 glc
	s_waitcnt vmcnt(0)
	v_cmp_eq_u64_e32 vcc, v[2:3], v[4:5]
	v_mov_b32_e32 v5, v3
	s_or_b64 s[20:21], vcc, s[20:21]
	v_mov_b32_e32 v4, v2
	s_andn2_b64 exec, exec, s[20:21]
	s_cbranch_execnz .LBB8_457
.LBB8_458:                              ;   in Loop: Header=BB8_390 Depth=1
	s_or_b64 exec, exec, s[18:19]
	global_load_dwordx2 v[2:3], v26, s[2:3] offset:16
	s_mov_b64 s[20:21], exec
	v_mbcnt_lo_u32_b32 v4, s20, 0
	v_mbcnt_hi_u32_b32 v4, s21, v4
	v_cmp_eq_u32_e32 vcc, 0, v4
	s_and_saveexec_b64 s[18:19], vcc
	s_cbranch_execz .LBB8_460
; %bb.459:                              ;   in Loop: Header=BB8_390 Depth=1
	s_bcnt1_i32_b64 s20, s[20:21]
	v_mov_b32_e32 v25, s20
	s_waitcnt vmcnt(0)
	global_atomic_add_x2 v[2:3], v[25:26], off offset:8
.LBB8_460:                              ;   in Loop: Header=BB8_390 Depth=1
	s_or_b64 exec, exec, s[18:19]
	s_waitcnt vmcnt(0)
	global_load_dwordx2 v[4:5], v[2:3], off offset:16
	s_waitcnt vmcnt(0)
	v_cmp_eq_u64_e32 vcc, 0, v[4:5]
	s_cbranch_vccnz .LBB8_462
; %bb.461:                              ;   in Loop: Header=BB8_390 Depth=1
	global_load_dword v25, v[2:3], off offset:24
	s_waitcnt vmcnt(0)
	v_readfirstlane_b32 s18, v25
	s_and_b32 m0, s18, 0xffffff
	global_store_dwordx2 v[4:5], v[25:26], off
	s_sendmsg sendmsg(MSG_INTERRUPT)
.LBB8_462:                              ;   in Loop: Header=BB8_390 Depth=1
	s_or_b64 exec, exec, s[16:17]
	v_add_co_u32_e32 v2, vcc, v24, v29
	v_addc_co_u32_e32 v3, vcc, 0, v32, vcc
	s_branch .LBB8_466
.LBB8_463:                              ;   in Loop: Header=BB8_466 Depth=2
	s_or_b64 exec, exec, s[16:17]
	v_readfirstlane_b32 s16, v4
	s_cmp_eq_u32 s16, 0
	s_cbranch_scc1 .LBB8_465
; %bb.464:                              ;   in Loop: Header=BB8_466 Depth=2
	s_sleep 1
	s_cbranch_execnz .LBB8_466
	s_branch .LBB8_468
.LBB8_465:                              ;   in Loop: Header=BB8_390 Depth=1
	s_branch .LBB8_468
.LBB8_466:                              ;   Parent Loop BB8_390 Depth=1
                                        ; =>  This Inner Loop Header: Depth=2
	v_mov_b32_e32 v4, 1
	s_and_saveexec_b64 s[16:17], s[0:1]
	s_cbranch_execz .LBB8_463
; %bb.467:                              ;   in Loop: Header=BB8_466 Depth=2
	global_load_dword v4, v[27:28], off offset:20 glc
	s_waitcnt vmcnt(0)
	buffer_wbinvl1_vol
	v_and_b32_e32 v4, 1, v4
	s_branch .LBB8_463
.LBB8_468:                              ;   in Loop: Header=BB8_390 Depth=1
	global_load_dwordx2 v[2:3], v[2:3], off
	s_and_saveexec_b64 s[16:17], s[0:1]
	s_cbranch_execz .LBB8_389
; %bb.469:                              ;   in Loop: Header=BB8_390 Depth=1
	global_load_dwordx2 v[4:5], v26, s[2:3] offset:40
	global_load_dwordx2 v[14:15], v26, s[2:3] offset:24 glc
	global_load_dwordx2 v[6:7], v26, s[2:3]
	s_waitcnt vmcnt(2)
	v_readfirstlane_b32 s18, v4
	v_readfirstlane_b32 s19, v5
	s_add_u32 s20, s18, 1
	s_addc_u32 s21, s19, 0
	s_add_u32 s0, s20, s14
	s_addc_u32 s1, s21, s15
	s_cmp_eq_u64 s[0:1], 0
	s_cselect_b32 s1, s21, s1
	s_cselect_b32 s0, s20, s0
	s_and_b64 s[14:15], s[0:1], s[18:19]
	s_mul_i32 s15, s15, 24
	s_mul_hi_u32 s18, s14, 24
	s_mul_i32 s14, s14, 24
	s_add_i32 s15, s18, s15
	v_mov_b32_e32 v4, s15
	s_waitcnt vmcnt(0)
	v_add_co_u32_e32 v10, vcc, s14, v6
	v_addc_co_u32_e32 v11, vcc, v7, v4, vcc
	v_mov_b32_e32 v12, s0
	global_store_dwordx2 v[10:11], v[14:15], off
	v_mov_b32_e32 v13, s1
	s_waitcnt vmcnt(0)
	global_atomic_cmpswap_x2 v[6:7], v26, v[12:15], s[2:3] offset:24 glc
	s_waitcnt vmcnt(0)
	v_cmp_ne_u64_e32 vcc, v[6:7], v[14:15]
	s_and_b64 exec, exec, vcc
	s_cbranch_execz .LBB8_389
; %bb.470:                              ;   in Loop: Header=BB8_390 Depth=1
	s_mov_b64 s[14:15], 0
.LBB8_471:                              ;   Parent Loop BB8_390 Depth=1
                                        ; =>  This Inner Loop Header: Depth=2
	s_sleep 1
	global_store_dwordx2 v[10:11], v[6:7], off
	v_mov_b32_e32 v4, s0
	v_mov_b32_e32 v5, s1
	s_waitcnt vmcnt(0)
	global_atomic_cmpswap_x2 v[4:5], v26, v[4:7], s[2:3] offset:24 glc
	s_waitcnt vmcnt(0)
	v_cmp_eq_u64_e32 vcc, v[4:5], v[6:7]
	v_mov_b32_e32 v7, v5
	s_or_b64 s[14:15], vcc, s[14:15]
	v_mov_b32_e32 v6, v4
	s_andn2_b64 exec, exec, s[14:15]
	s_cbranch_execnz .LBB8_471
	s_branch .LBB8_389
.LBB8_472:
	s_branch .LBB8_527
.LBB8_473:
                                        ; implicit-def: $vgpr0_vgpr1
	s_cbranch_execz .LBB8_387
; %bb.474:
	v_readfirstlane_b32 s0, v30
	v_mov_b32_e32 v7, 0
	v_mov_b32_e32 v8, 0
	v_cmp_eq_u32_e64 s[0:1], s0, v30
	s_and_saveexec_b64 s[8:9], s[0:1]
	s_cbranch_execz .LBB8_480
; %bb.475:
	s_waitcnt vmcnt(0)
	v_mov_b32_e32 v0, 0
	global_load_dwordx2 v[9:10], v0, s[2:3] offset:24 glc
	s_waitcnt vmcnt(0)
	buffer_wbinvl1_vol
	global_load_dwordx2 v[1:2], v0, s[2:3] offset:40
	global_load_dwordx2 v[6:7], v0, s[2:3]
	s_waitcnt vmcnt(1)
	v_and_b32_e32 v1, v1, v9
	v_and_b32_e32 v2, v2, v10
	v_mul_lo_u32 v2, v2, 24
	v_mul_hi_u32 v3, v1, 24
	v_mul_lo_u32 v1, v1, 24
	v_add_u32_e32 v2, v3, v2
	s_waitcnt vmcnt(0)
	v_add_co_u32_e32 v1, vcc, v6, v1
	v_addc_co_u32_e32 v2, vcc, v7, v2, vcc
	global_load_dwordx2 v[7:8], v[1:2], off glc
	s_waitcnt vmcnt(0)
	global_atomic_cmpswap_x2 v[7:8], v0, v[7:10], s[2:3] offset:24 glc
	s_waitcnt vmcnt(0)
	buffer_wbinvl1_vol
	v_cmp_ne_u64_e32 vcc, v[7:8], v[9:10]
	s_and_saveexec_b64 s[10:11], vcc
	s_cbranch_execz .LBB8_479
; %bb.476:
	s_mov_b64 s[12:13], 0
.LBB8_477:                              ; =>This Inner Loop Header: Depth=1
	s_sleep 1
	global_load_dwordx2 v[1:2], v0, s[2:3] offset:40
	global_load_dwordx2 v[11:12], v0, s[2:3]
	v_mov_b32_e32 v10, v8
	v_mov_b32_e32 v9, v7
	s_waitcnt vmcnt(1)
	v_and_b32_e32 v1, v1, v9
	s_waitcnt vmcnt(0)
	v_mad_u64_u32 v[6:7], s[14:15], v1, 24, v[11:12]
	v_and_b32_e32 v2, v2, v10
	v_mov_b32_e32 v1, v7
	v_mad_u64_u32 v[1:2], s[14:15], v2, 24, v[1:2]
	v_mov_b32_e32 v7, v1
	global_load_dwordx2 v[7:8], v[6:7], off glc
	s_waitcnt vmcnt(0)
	global_atomic_cmpswap_x2 v[7:8], v0, v[7:10], s[2:3] offset:24 glc
	s_waitcnt vmcnt(0)
	buffer_wbinvl1_vol
	v_cmp_eq_u64_e32 vcc, v[7:8], v[9:10]
	s_or_b64 s[12:13], vcc, s[12:13]
	s_andn2_b64 exec, exec, s[12:13]
	s_cbranch_execnz .LBB8_477
; %bb.478:
	s_or_b64 exec, exec, s[12:13]
.LBB8_479:
	s_or_b64 exec, exec, s[10:11]
.LBB8_480:
	s_or_b64 exec, exec, s[8:9]
	v_mov_b32_e32 v6, 0
	global_load_dwordx2 v[9:10], v6, s[2:3] offset:40
	global_load_dwordx4 v[0:3], v6, s[2:3]
	v_readfirstlane_b32 s9, v8
	v_readfirstlane_b32 s8, v7
	s_mov_b64 s[10:11], exec
	s_waitcnt vmcnt(1)
	v_readfirstlane_b32 s12, v9
	v_readfirstlane_b32 s13, v10
	s_and_b64 s[12:13], s[12:13], s[8:9]
	s_mul_i32 s14, s13, 24
	s_mul_hi_u32 s15, s12, 24
	s_mul_i32 s16, s12, 24
	s_add_i32 s14, s15, s14
	v_mov_b32_e32 v7, s14
	s_waitcnt vmcnt(0)
	v_add_co_u32_e32 v8, vcc, s16, v0
	v_addc_co_u32_e32 v9, vcc, v1, v7, vcc
	s_and_saveexec_b64 s[14:15], s[0:1]
	s_cbranch_execz .LBB8_482
; %bb.481:
	v_mov_b32_e32 v10, s10
	v_mov_b32_e32 v11, s11
	;; [unrolled: 1-line block ×4, first 2 shown]
	global_store_dwordx4 v[8:9], v[10:13], off offset:8
.LBB8_482:
	s_or_b64 exec, exec, s[14:15]
	s_lshl_b64 s[10:11], s[12:13], 12
	v_mov_b32_e32 v7, s11
	v_add_co_u32_e32 v2, vcc, s10, v2
	v_addc_co_u32_e32 v3, vcc, v3, v7, vcc
	s_movk_i32 s10, 0xff1f
	v_and_or_b32 v4, v4, s10, 32
	v_add_co_u32_e32 v10, vcc, v2, v29
	s_mov_b32 s12, 0
	v_mov_b32_e32 v7, v6
	v_readfirstlane_b32 s10, v2
	v_readfirstlane_b32 s11, v3
	v_addc_co_u32_e32 v11, vcc, 0, v3, vcc
	s_mov_b32 s13, s12
	s_mov_b32 s14, s12
	;; [unrolled: 1-line block ×3, first 2 shown]
	s_nop 0
	global_store_dwordx4 v29, v[4:7], s[10:11]
	v_mov_b32_e32 v2, s12
	v_mov_b32_e32 v3, s13
	;; [unrolled: 1-line block ×4, first 2 shown]
	global_store_dwordx4 v29, v[2:5], s[10:11] offset:16
	global_store_dwordx4 v29, v[2:5], s[10:11] offset:32
	;; [unrolled: 1-line block ×3, first 2 shown]
	s_and_saveexec_b64 s[10:11], s[0:1]
	s_cbranch_execz .LBB8_490
; %bb.483:
	v_mov_b32_e32 v6, 0
	global_load_dwordx2 v[14:15], v6, s[2:3] offset:32 glc
	global_load_dwordx2 v[2:3], v6, s[2:3] offset:40
	v_mov_b32_e32 v12, s8
	v_mov_b32_e32 v13, s9
	s_waitcnt vmcnt(0)
	v_readfirstlane_b32 s12, v2
	v_readfirstlane_b32 s13, v3
	s_and_b64 s[12:13], s[12:13], s[8:9]
	s_mul_i32 s13, s13, 24
	s_mul_hi_u32 s14, s12, 24
	s_mul_i32 s12, s12, 24
	s_add_i32 s13, s14, s13
	v_mov_b32_e32 v2, s13
	v_add_co_u32_e32 v4, vcc, s12, v0
	v_addc_co_u32_e32 v5, vcc, v1, v2, vcc
	global_store_dwordx2 v[4:5], v[14:15], off
	s_waitcnt vmcnt(0)
	global_atomic_cmpswap_x2 v[2:3], v6, v[12:15], s[2:3] offset:32 glc
	s_waitcnt vmcnt(0)
	v_cmp_ne_u64_e32 vcc, v[2:3], v[14:15]
	s_and_saveexec_b64 s[12:13], vcc
	s_cbranch_execz .LBB8_486
; %bb.484:
	s_mov_b64 s[14:15], 0
.LBB8_485:                              ; =>This Inner Loop Header: Depth=1
	s_sleep 1
	global_store_dwordx2 v[4:5], v[2:3], off
	v_mov_b32_e32 v0, s8
	v_mov_b32_e32 v1, s9
	s_waitcnt vmcnt(0)
	global_atomic_cmpswap_x2 v[0:1], v6, v[0:3], s[2:3] offset:32 glc
	s_waitcnt vmcnt(0)
	v_cmp_eq_u64_e32 vcc, v[0:1], v[2:3]
	v_mov_b32_e32 v3, v1
	s_or_b64 s[14:15], vcc, s[14:15]
	v_mov_b32_e32 v2, v0
	s_andn2_b64 exec, exec, s[14:15]
	s_cbranch_execnz .LBB8_485
.LBB8_486:
	s_or_b64 exec, exec, s[12:13]
	v_mov_b32_e32 v3, 0
	global_load_dwordx2 v[0:1], v3, s[2:3] offset:16
	s_mov_b64 s[12:13], exec
	v_mbcnt_lo_u32_b32 v2, s12, 0
	v_mbcnt_hi_u32_b32 v2, s13, v2
	v_cmp_eq_u32_e32 vcc, 0, v2
	s_and_saveexec_b64 s[14:15], vcc
	s_cbranch_execz .LBB8_488
; %bb.487:
	s_bcnt1_i32_b64 s12, s[12:13]
	v_mov_b32_e32 v2, s12
	s_waitcnt vmcnt(0)
	global_atomic_add_x2 v[0:1], v[2:3], off offset:8
.LBB8_488:
	s_or_b64 exec, exec, s[14:15]
	s_waitcnt vmcnt(0)
	global_load_dwordx2 v[2:3], v[0:1], off offset:16
	s_waitcnt vmcnt(0)
	v_cmp_eq_u64_e32 vcc, 0, v[2:3]
	s_cbranch_vccnz .LBB8_490
; %bb.489:
	global_load_dword v0, v[0:1], off offset:24
	v_mov_b32_e32 v1, 0
	s_waitcnt vmcnt(0)
	v_readfirstlane_b32 s12, v0
	s_and_b32 m0, s12, 0xffffff
	global_store_dwordx2 v[2:3], v[0:1], off
	s_sendmsg sendmsg(MSG_INTERRUPT)
.LBB8_490:
	s_or_b64 exec, exec, s[10:11]
	s_branch .LBB8_494
.LBB8_491:                              ;   in Loop: Header=BB8_494 Depth=1
	s_or_b64 exec, exec, s[10:11]
	v_readfirstlane_b32 s10, v0
	s_cmp_eq_u32 s10, 0
	s_cbranch_scc1 .LBB8_493
; %bb.492:                              ;   in Loop: Header=BB8_494 Depth=1
	s_sleep 1
	s_cbranch_execnz .LBB8_494
	s_branch .LBB8_496
.LBB8_493:
	s_branch .LBB8_496
.LBB8_494:                              ; =>This Inner Loop Header: Depth=1
	v_mov_b32_e32 v0, 1
	s_and_saveexec_b64 s[10:11], s[0:1]
	s_cbranch_execz .LBB8_491
; %bb.495:                              ;   in Loop: Header=BB8_494 Depth=1
	global_load_dword v0, v[8:9], off offset:20 glc
	s_waitcnt vmcnt(0)
	buffer_wbinvl1_vol
	v_and_b32_e32 v0, 1, v0
	s_branch .LBB8_491
.LBB8_496:
	global_load_dwordx2 v[0:1], v[10:11], off
	s_and_saveexec_b64 s[10:11], s[0:1]
	s_cbranch_execz .LBB8_499
; %bb.497:
	v_mov_b32_e32 v8, 0
	global_load_dwordx2 v[2:3], v8, s[2:3] offset:40
	global_load_dwordx2 v[11:12], v8, s[2:3] offset:24 glc
	global_load_dwordx2 v[4:5], v8, s[2:3]
	s_waitcnt vmcnt(2)
	v_readfirstlane_b32 s12, v2
	v_readfirstlane_b32 s13, v3
	s_add_u32 s14, s12, 1
	s_addc_u32 s15, s13, 0
	s_add_u32 s0, s14, s8
	s_addc_u32 s1, s15, s9
	s_cmp_eq_u64 s[0:1], 0
	s_cselect_b32 s1, s15, s1
	s_cselect_b32 s0, s14, s0
	s_and_b64 s[8:9], s[0:1], s[12:13]
	s_mul_i32 s9, s9, 24
	s_mul_hi_u32 s12, s8, 24
	s_mul_i32 s8, s8, 24
	s_add_i32 s9, s12, s9
	v_mov_b32_e32 v2, s9
	s_waitcnt vmcnt(0)
	v_add_co_u32_e32 v6, vcc, s8, v4
	v_addc_co_u32_e32 v7, vcc, v5, v2, vcc
	v_mov_b32_e32 v9, s0
	global_store_dwordx2 v[6:7], v[11:12], off
	v_mov_b32_e32 v10, s1
	s_waitcnt vmcnt(0)
	global_atomic_cmpswap_x2 v[4:5], v8, v[9:12], s[2:3] offset:24 glc
	s_mov_b64 s[8:9], 0
	s_waitcnt vmcnt(0)
	v_cmp_ne_u64_e32 vcc, v[4:5], v[11:12]
	s_and_b64 exec, exec, vcc
	s_cbranch_execz .LBB8_499
.LBB8_498:                              ; =>This Inner Loop Header: Depth=1
	s_sleep 1
	global_store_dwordx2 v[6:7], v[4:5], off
	v_mov_b32_e32 v2, s0
	v_mov_b32_e32 v3, s1
	s_waitcnt vmcnt(0)
	global_atomic_cmpswap_x2 v[2:3], v8, v[2:5], s[2:3] offset:24 glc
	s_waitcnt vmcnt(0)
	v_cmp_eq_u64_e32 vcc, v[2:3], v[4:5]
	v_mov_b32_e32 v5, v3
	s_or_b64 s[8:9], vcc, s[8:9]
	v_mov_b32_e32 v4, v2
	s_andn2_b64 exec, exec, s[8:9]
	s_cbranch_execnz .LBB8_498
.LBB8_499:
	s_or_b64 exec, exec, s[10:11]
	s_and_b64 vcc, exec, s[6:7]
	s_cbranch_vccnz .LBB8_388
.LBB8_500:
                                        ; implicit-def: $vgpr2_vgpr3
	s_cbranch_execz .LBB8_527
; %bb.501:
	v_readfirstlane_b32 s0, v30
	v_mov_b32_e32 v8, 0
	v_mov_b32_e32 v9, 0
	v_cmp_eq_u32_e64 s[0:1], s0, v30
	s_and_saveexec_b64 s[8:9], s[0:1]
	s_cbranch_execz .LBB8_507
; %bb.502:
	s_waitcnt vmcnt(0)
	v_mov_b32_e32 v2, 0
	global_load_dwordx2 v[5:6], v2, s[2:3] offset:24 glc
	s_waitcnt vmcnt(0)
	buffer_wbinvl1_vol
	global_load_dwordx2 v[3:4], v2, s[2:3] offset:40
	global_load_dwordx2 v[7:8], v2, s[2:3]
	s_waitcnt vmcnt(1)
	v_and_b32_e32 v3, v3, v5
	v_and_b32_e32 v4, v4, v6
	v_mul_lo_u32 v4, v4, 24
	v_mul_hi_u32 v9, v3, 24
	v_mul_lo_u32 v3, v3, 24
	v_add_u32_e32 v4, v9, v4
	s_waitcnt vmcnt(0)
	v_add_co_u32_e32 v3, vcc, v7, v3
	v_addc_co_u32_e32 v4, vcc, v8, v4, vcc
	global_load_dwordx2 v[3:4], v[3:4], off glc
	s_waitcnt vmcnt(0)
	global_atomic_cmpswap_x2 v[8:9], v2, v[3:6], s[2:3] offset:24 glc
	s_waitcnt vmcnt(0)
	buffer_wbinvl1_vol
	v_cmp_ne_u64_e32 vcc, v[8:9], v[5:6]
	s_and_saveexec_b64 s[10:11], vcc
	s_cbranch_execz .LBB8_506
; %bb.503:
	s_mov_b64 s[12:13], 0
.LBB8_504:                              ; =>This Inner Loop Header: Depth=1
	s_sleep 1
	global_load_dwordx2 v[3:4], v2, s[2:3] offset:40
	global_load_dwordx2 v[10:11], v2, s[2:3]
	v_mov_b32_e32 v5, v8
	v_mov_b32_e32 v6, v9
	s_waitcnt vmcnt(1)
	v_and_b32_e32 v3, v3, v5
	s_waitcnt vmcnt(0)
	v_mad_u64_u32 v[7:8], s[14:15], v3, 24, v[10:11]
	v_and_b32_e32 v4, v4, v6
	v_mov_b32_e32 v3, v8
	v_mad_u64_u32 v[3:4], s[14:15], v4, 24, v[3:4]
	v_mov_b32_e32 v8, v3
	global_load_dwordx2 v[3:4], v[7:8], off glc
	s_waitcnt vmcnt(0)
	global_atomic_cmpswap_x2 v[8:9], v2, v[3:6], s[2:3] offset:24 glc
	s_waitcnt vmcnt(0)
	buffer_wbinvl1_vol
	v_cmp_eq_u64_e32 vcc, v[8:9], v[5:6]
	s_or_b64 s[12:13], vcc, s[12:13]
	s_andn2_b64 exec, exec, s[12:13]
	s_cbranch_execnz .LBB8_504
; %bb.505:
	s_or_b64 exec, exec, s[12:13]
.LBB8_506:
	s_or_b64 exec, exec, s[10:11]
.LBB8_507:
	s_or_b64 exec, exec, s[8:9]
	s_waitcnt vmcnt(0)
	v_mov_b32_e32 v2, 0
	global_load_dwordx2 v[10:11], v2, s[2:3] offset:40
	global_load_dwordx4 v[4:7], v2, s[2:3]
	v_readfirstlane_b32 s9, v9
	v_readfirstlane_b32 s8, v8
	s_mov_b64 s[10:11], exec
	s_waitcnt vmcnt(1)
	v_readfirstlane_b32 s12, v10
	v_readfirstlane_b32 s13, v11
	s_and_b64 s[12:13], s[12:13], s[8:9]
	s_mul_i32 s14, s13, 24
	s_mul_hi_u32 s15, s12, 24
	s_mul_i32 s16, s12, 24
	s_add_i32 s14, s15, s14
	v_mov_b32_e32 v3, s14
	s_waitcnt vmcnt(0)
	v_add_co_u32_e32 v8, vcc, s16, v4
	v_addc_co_u32_e32 v9, vcc, v5, v3, vcc
	s_and_saveexec_b64 s[14:15], s[0:1]
	s_cbranch_execz .LBB8_509
; %bb.508:
	v_mov_b32_e32 v10, s10
	v_mov_b32_e32 v11, s11
	;; [unrolled: 1-line block ×4, first 2 shown]
	global_store_dwordx4 v[8:9], v[10:13], off offset:8
.LBB8_509:
	s_or_b64 exec, exec, s[14:15]
	s_lshl_b64 s[10:11], s[12:13], 12
	v_mov_b32_e32 v3, s11
	v_add_co_u32_e32 v10, vcc, s10, v6
	v_addc_co_u32_e32 v11, vcc, v7, v3, vcc
	s_movk_i32 s10, 0xff1f
	v_and_or_b32 v0, v0, s10, 32
	s_mov_b32 s12, 0
	v_mov_b32_e32 v3, v2
	v_readfirstlane_b32 s10, v10
	v_readfirstlane_b32 s11, v11
	v_add_co_u32_e32 v6, vcc, v10, v29
	s_mov_b32 s13, s12
	s_mov_b32 s14, s12
	;; [unrolled: 1-line block ×3, first 2 shown]
	s_nop 0
	global_store_dwordx4 v29, v[0:3], s[10:11]
	v_addc_co_u32_e32 v7, vcc, 0, v11, vcc
	v_mov_b32_e32 v0, s12
	v_mov_b32_e32 v1, s13
	;; [unrolled: 1-line block ×4, first 2 shown]
	global_store_dwordx4 v29, v[0:3], s[10:11] offset:16
	global_store_dwordx4 v29, v[0:3], s[10:11] offset:32
	global_store_dwordx4 v29, v[0:3], s[10:11] offset:48
	s_and_saveexec_b64 s[10:11], s[0:1]
	s_cbranch_execz .LBB8_517
; %bb.510:
	v_mov_b32_e32 v10, 0
	global_load_dwordx2 v[13:14], v10, s[2:3] offset:32 glc
	global_load_dwordx2 v[0:1], v10, s[2:3] offset:40
	v_mov_b32_e32 v11, s8
	v_mov_b32_e32 v12, s9
	s_waitcnt vmcnt(0)
	v_readfirstlane_b32 s12, v0
	v_readfirstlane_b32 s13, v1
	s_and_b64 s[12:13], s[12:13], s[8:9]
	s_mul_i32 s13, s13, 24
	s_mul_hi_u32 s14, s12, 24
	s_mul_i32 s12, s12, 24
	s_add_i32 s13, s14, s13
	v_mov_b32_e32 v0, s13
	v_add_co_u32_e32 v4, vcc, s12, v4
	v_addc_co_u32_e32 v5, vcc, v5, v0, vcc
	global_store_dwordx2 v[4:5], v[13:14], off
	s_waitcnt vmcnt(0)
	global_atomic_cmpswap_x2 v[2:3], v10, v[11:14], s[2:3] offset:32 glc
	s_waitcnt vmcnt(0)
	v_cmp_ne_u64_e32 vcc, v[2:3], v[13:14]
	s_and_saveexec_b64 s[12:13], vcc
	s_cbranch_execz .LBB8_513
; %bb.511:
	s_mov_b64 s[14:15], 0
.LBB8_512:                              ; =>This Inner Loop Header: Depth=1
	s_sleep 1
	global_store_dwordx2 v[4:5], v[2:3], off
	v_mov_b32_e32 v0, s8
	v_mov_b32_e32 v1, s9
	s_waitcnt vmcnt(0)
	global_atomic_cmpswap_x2 v[0:1], v10, v[0:3], s[2:3] offset:32 glc
	s_waitcnt vmcnt(0)
	v_cmp_eq_u64_e32 vcc, v[0:1], v[2:3]
	v_mov_b32_e32 v3, v1
	s_or_b64 s[14:15], vcc, s[14:15]
	v_mov_b32_e32 v2, v0
	s_andn2_b64 exec, exec, s[14:15]
	s_cbranch_execnz .LBB8_512
.LBB8_513:
	s_or_b64 exec, exec, s[12:13]
	v_mov_b32_e32 v3, 0
	global_load_dwordx2 v[0:1], v3, s[2:3] offset:16
	s_mov_b64 s[12:13], exec
	v_mbcnt_lo_u32_b32 v2, s12, 0
	v_mbcnt_hi_u32_b32 v2, s13, v2
	v_cmp_eq_u32_e32 vcc, 0, v2
	s_and_saveexec_b64 s[14:15], vcc
	s_cbranch_execz .LBB8_515
; %bb.514:
	s_bcnt1_i32_b64 s12, s[12:13]
	v_mov_b32_e32 v2, s12
	s_waitcnt vmcnt(0)
	global_atomic_add_x2 v[0:1], v[2:3], off offset:8
.LBB8_515:
	s_or_b64 exec, exec, s[14:15]
	s_waitcnt vmcnt(0)
	global_load_dwordx2 v[2:3], v[0:1], off offset:16
	s_waitcnt vmcnt(0)
	v_cmp_eq_u64_e32 vcc, 0, v[2:3]
	s_cbranch_vccnz .LBB8_517
; %bb.516:
	global_load_dword v0, v[0:1], off offset:24
	v_mov_b32_e32 v1, 0
	s_waitcnt vmcnt(0)
	v_readfirstlane_b32 s12, v0
	s_and_b32 m0, s12, 0xffffff
	global_store_dwordx2 v[2:3], v[0:1], off
	s_sendmsg sendmsg(MSG_INTERRUPT)
.LBB8_517:
	s_or_b64 exec, exec, s[10:11]
	s_branch .LBB8_521
.LBB8_518:                              ;   in Loop: Header=BB8_521 Depth=1
	s_or_b64 exec, exec, s[10:11]
	v_readfirstlane_b32 s10, v0
	s_cmp_eq_u32 s10, 0
	s_cbranch_scc1 .LBB8_520
; %bb.519:                              ;   in Loop: Header=BB8_521 Depth=1
	s_sleep 1
	s_cbranch_execnz .LBB8_521
	s_branch .LBB8_523
.LBB8_520:
	s_branch .LBB8_523
.LBB8_521:                              ; =>This Inner Loop Header: Depth=1
	v_mov_b32_e32 v0, 1
	s_and_saveexec_b64 s[10:11], s[0:1]
	s_cbranch_execz .LBB8_518
; %bb.522:                              ;   in Loop: Header=BB8_521 Depth=1
	global_load_dword v0, v[8:9], off offset:20 glc
	s_waitcnt vmcnt(0)
	buffer_wbinvl1_vol
	v_and_b32_e32 v0, 1, v0
	s_branch .LBB8_518
.LBB8_523:
	global_load_dwordx2 v[2:3], v[6:7], off
	s_and_saveexec_b64 s[10:11], s[0:1]
	s_cbranch_execz .LBB8_526
; %bb.524:
	v_mov_b32_e32 v8, 0
	global_load_dwordx2 v[0:1], v8, s[2:3] offset:40
	global_load_dwordx2 v[11:12], v8, s[2:3] offset:24 glc
	global_load_dwordx2 v[4:5], v8, s[2:3]
	s_waitcnt vmcnt(2)
	v_readfirstlane_b32 s12, v0
	v_readfirstlane_b32 s13, v1
	s_add_u32 s14, s12, 1
	s_addc_u32 s15, s13, 0
	s_add_u32 s0, s14, s8
	s_addc_u32 s1, s15, s9
	s_cmp_eq_u64 s[0:1], 0
	s_cselect_b32 s1, s15, s1
	s_cselect_b32 s0, s14, s0
	s_and_b64 s[8:9], s[0:1], s[12:13]
	s_mul_i32 s9, s9, 24
	s_mul_hi_u32 s12, s8, 24
	s_mul_i32 s8, s8, 24
	s_add_i32 s9, s12, s9
	v_mov_b32_e32 v1, s9
	s_waitcnt vmcnt(0)
	v_add_co_u32_e32 v0, vcc, s8, v4
	v_addc_co_u32_e32 v1, vcc, v5, v1, vcc
	v_mov_b32_e32 v9, s0
	global_store_dwordx2 v[0:1], v[11:12], off
	v_mov_b32_e32 v10, s1
	s_waitcnt vmcnt(0)
	global_atomic_cmpswap_x2 v[6:7], v8, v[9:12], s[2:3] offset:24 glc
	s_mov_b64 s[8:9], 0
	s_waitcnt vmcnt(0)
	v_cmp_ne_u64_e32 vcc, v[6:7], v[11:12]
	s_and_b64 exec, exec, vcc
	s_cbranch_execz .LBB8_526
.LBB8_525:                              ; =>This Inner Loop Header: Depth=1
	s_sleep 1
	global_store_dwordx2 v[0:1], v[6:7], off
	v_mov_b32_e32 v4, s0
	v_mov_b32_e32 v5, s1
	s_waitcnt vmcnt(0)
	global_atomic_cmpswap_x2 v[4:5], v8, v[4:7], s[2:3] offset:24 glc
	s_waitcnt vmcnt(0)
	v_cmp_eq_u64_e32 vcc, v[4:5], v[6:7]
	v_mov_b32_e32 v7, v5
	s_or_b64 s[8:9], vcc, s[8:9]
	v_mov_b32_e32 v6, v4
	s_andn2_b64 exec, exec, s[8:9]
	s_cbranch_execnz .LBB8_525
.LBB8_526:
	s_or_b64 exec, exec, s[10:11]
.LBB8_527:
	v_readfirstlane_b32 s0, v30
	s_waitcnt vmcnt(0)
	v_mov_b32_e32 v0, 0
	v_mov_b32_e32 v1, 0
	v_cmp_eq_u32_e64 s[0:1], s0, v30
	s_and_saveexec_b64 s[8:9], s[0:1]
	s_cbranch_execz .LBB8_533
; %bb.528:
	v_mov_b32_e32 v4, 0
	global_load_dwordx2 v[7:8], v4, s[2:3] offset:24 glc
	s_waitcnt vmcnt(0)
	buffer_wbinvl1_vol
	global_load_dwordx2 v[0:1], v4, s[2:3] offset:40
	global_load_dwordx2 v[5:6], v4, s[2:3]
	s_waitcnt vmcnt(1)
	v_and_b32_e32 v0, v0, v7
	v_and_b32_e32 v1, v1, v8
	v_mul_lo_u32 v1, v1, 24
	v_mul_hi_u32 v9, v0, 24
	v_mul_lo_u32 v0, v0, 24
	v_add_u32_e32 v1, v9, v1
	s_waitcnt vmcnt(0)
	v_add_co_u32_e32 v0, vcc, v5, v0
	v_addc_co_u32_e32 v1, vcc, v6, v1, vcc
	global_load_dwordx2 v[5:6], v[0:1], off glc
	s_waitcnt vmcnt(0)
	global_atomic_cmpswap_x2 v[0:1], v4, v[5:8], s[2:3] offset:24 glc
	s_waitcnt vmcnt(0)
	buffer_wbinvl1_vol
	v_cmp_ne_u64_e32 vcc, v[0:1], v[7:8]
	s_and_saveexec_b64 s[10:11], vcc
	s_cbranch_execz .LBB8_532
; %bb.529:
	s_mov_b64 s[12:13], 0
.LBB8_530:                              ; =>This Inner Loop Header: Depth=1
	s_sleep 1
	global_load_dwordx2 v[5:6], v4, s[2:3] offset:40
	global_load_dwordx2 v[9:10], v4, s[2:3]
	v_mov_b32_e32 v8, v1
	v_mov_b32_e32 v7, v0
	s_waitcnt vmcnt(1)
	v_and_b32_e32 v0, v5, v7
	s_waitcnt vmcnt(0)
	v_mad_u64_u32 v[0:1], s[14:15], v0, 24, v[9:10]
	v_and_b32_e32 v5, v6, v8
	v_mad_u64_u32 v[5:6], s[14:15], v5, 24, v[1:2]
	v_mov_b32_e32 v1, v5
	global_load_dwordx2 v[5:6], v[0:1], off glc
	s_waitcnt vmcnt(0)
	global_atomic_cmpswap_x2 v[0:1], v4, v[5:8], s[2:3] offset:24 glc
	s_waitcnt vmcnt(0)
	buffer_wbinvl1_vol
	v_cmp_eq_u64_e32 vcc, v[0:1], v[7:8]
	s_or_b64 s[12:13], vcc, s[12:13]
	s_andn2_b64 exec, exec, s[12:13]
	s_cbranch_execnz .LBB8_530
; %bb.531:
	s_or_b64 exec, exec, s[12:13]
.LBB8_532:
	s_or_b64 exec, exec, s[10:11]
.LBB8_533:
	s_or_b64 exec, exec, s[8:9]
	v_mov_b32_e32 v5, 0
	global_load_dwordx2 v[10:11], v5, s[2:3] offset:40
	global_load_dwordx4 v[6:9], v5, s[2:3]
	v_readfirstlane_b32 s9, v1
	v_readfirstlane_b32 s8, v0
	s_mov_b64 s[10:11], exec
	s_waitcnt vmcnt(1)
	v_readfirstlane_b32 s12, v10
	v_readfirstlane_b32 s13, v11
	s_and_b64 s[12:13], s[12:13], s[8:9]
	s_mul_i32 s14, s13, 24
	s_mul_hi_u32 s15, s12, 24
	s_mul_i32 s16, s12, 24
	s_add_i32 s14, s15, s14
	v_mov_b32_e32 v0, s14
	s_waitcnt vmcnt(0)
	v_add_co_u32_e32 v10, vcc, s16, v6
	v_addc_co_u32_e32 v11, vcc, v7, v0, vcc
	s_and_saveexec_b64 s[14:15], s[0:1]
	s_cbranch_execz .LBB8_535
; %bb.534:
	v_mov_b32_e32 v13, s11
	v_mov_b32_e32 v12, s10
	;; [unrolled: 1-line block ×4, first 2 shown]
	global_store_dwordx4 v[10:11], v[12:15], off offset:8
.LBB8_535:
	s_or_b64 exec, exec, s[14:15]
	s_lshl_b64 s[10:11], s[12:13], 12
	v_mov_b32_e32 v0, s11
	v_add_co_u32_e32 v1, vcc, s10, v8
	v_addc_co_u32_e32 v0, vcc, v9, v0, vcc
	s_movk_i32 s10, 0xff1d
	v_and_or_b32 v2, v2, s10, 34
	s_mov_b32 s12, 0
	v_mov_b32_e32 v4, 1
	v_readfirstlane_b32 s10, v1
	v_readfirstlane_b32 s11, v0
	s_mov_b32 s13, s12
	s_mov_b32 s14, s12
	;; [unrolled: 1-line block ×3, first 2 shown]
	s_nop 1
	global_store_dwordx4 v29, v[2:5], s[10:11]
	v_mov_b32_e32 v0, s12
	v_mov_b32_e32 v1, s13
	;; [unrolled: 1-line block ×4, first 2 shown]
	global_store_dwordx4 v29, v[0:3], s[10:11] offset:16
	global_store_dwordx4 v29, v[0:3], s[10:11] offset:32
	;; [unrolled: 1-line block ×3, first 2 shown]
	s_and_saveexec_b64 s[10:11], s[0:1]
	s_cbranch_execz .LBB8_543
; %bb.536:
	v_mov_b32_e32 v8, 0
	global_load_dwordx2 v[14:15], v8, s[2:3] offset:32 glc
	global_load_dwordx2 v[0:1], v8, s[2:3] offset:40
	v_mov_b32_e32 v12, s8
	v_mov_b32_e32 v13, s9
	s_waitcnt vmcnt(0)
	v_readfirstlane_b32 s12, v0
	v_readfirstlane_b32 s13, v1
	s_and_b64 s[12:13], s[12:13], s[8:9]
	s_mul_i32 s13, s13, 24
	s_mul_hi_u32 s14, s12, 24
	s_mul_i32 s12, s12, 24
	s_add_i32 s13, s14, s13
	v_mov_b32_e32 v0, s13
	v_add_co_u32_e32 v4, vcc, s12, v6
	v_addc_co_u32_e32 v5, vcc, v7, v0, vcc
	global_store_dwordx2 v[4:5], v[14:15], off
	s_waitcnt vmcnt(0)
	global_atomic_cmpswap_x2 v[2:3], v8, v[12:15], s[2:3] offset:32 glc
	s_waitcnt vmcnt(0)
	v_cmp_ne_u64_e32 vcc, v[2:3], v[14:15]
	s_and_saveexec_b64 s[12:13], vcc
	s_cbranch_execz .LBB8_539
; %bb.537:
	s_mov_b64 s[14:15], 0
.LBB8_538:                              ; =>This Inner Loop Header: Depth=1
	s_sleep 1
	global_store_dwordx2 v[4:5], v[2:3], off
	v_mov_b32_e32 v0, s8
	v_mov_b32_e32 v1, s9
	s_waitcnt vmcnt(0)
	global_atomic_cmpswap_x2 v[0:1], v8, v[0:3], s[2:3] offset:32 glc
	s_waitcnt vmcnt(0)
	v_cmp_eq_u64_e32 vcc, v[0:1], v[2:3]
	v_mov_b32_e32 v3, v1
	s_or_b64 s[14:15], vcc, s[14:15]
	v_mov_b32_e32 v2, v0
	s_andn2_b64 exec, exec, s[14:15]
	s_cbranch_execnz .LBB8_538
.LBB8_539:
	s_or_b64 exec, exec, s[12:13]
	v_mov_b32_e32 v3, 0
	global_load_dwordx2 v[0:1], v3, s[2:3] offset:16
	s_mov_b64 s[12:13], exec
	v_mbcnt_lo_u32_b32 v2, s12, 0
	v_mbcnt_hi_u32_b32 v2, s13, v2
	v_cmp_eq_u32_e32 vcc, 0, v2
	s_and_saveexec_b64 s[14:15], vcc
	s_cbranch_execz .LBB8_541
; %bb.540:
	s_bcnt1_i32_b64 s12, s[12:13]
	v_mov_b32_e32 v2, s12
	s_waitcnt vmcnt(0)
	global_atomic_add_x2 v[0:1], v[2:3], off offset:8
.LBB8_541:
	s_or_b64 exec, exec, s[14:15]
	s_waitcnt vmcnt(0)
	global_load_dwordx2 v[2:3], v[0:1], off offset:16
	s_waitcnt vmcnt(0)
	v_cmp_eq_u64_e32 vcc, 0, v[2:3]
	s_cbranch_vccnz .LBB8_543
; %bb.542:
	global_load_dword v0, v[0:1], off offset:24
	v_mov_b32_e32 v1, 0
	s_waitcnt vmcnt(0)
	v_readfirstlane_b32 s12, v0
	s_and_b32 m0, s12, 0xffffff
	global_store_dwordx2 v[2:3], v[0:1], off
	s_sendmsg sendmsg(MSG_INTERRUPT)
.LBB8_543:
	s_or_b64 exec, exec, s[10:11]
	s_branch .LBB8_547
.LBB8_544:                              ;   in Loop: Header=BB8_547 Depth=1
	s_or_b64 exec, exec, s[10:11]
	v_readfirstlane_b32 s10, v0
	s_cmp_eq_u32 s10, 0
	s_cbranch_scc1 .LBB8_546
; %bb.545:                              ;   in Loop: Header=BB8_547 Depth=1
	s_sleep 1
	s_cbranch_execnz .LBB8_547
	s_branch .LBB8_549
.LBB8_546:
	s_branch .LBB8_549
.LBB8_547:                              ; =>This Inner Loop Header: Depth=1
	v_mov_b32_e32 v0, 1
	s_and_saveexec_b64 s[10:11], s[0:1]
	s_cbranch_execz .LBB8_544
; %bb.548:                              ;   in Loop: Header=BB8_547 Depth=1
	global_load_dword v0, v[10:11], off offset:20 glc
	s_waitcnt vmcnt(0)
	buffer_wbinvl1_vol
	v_and_b32_e32 v0, 1, v0
	s_branch .LBB8_544
.LBB8_549:
	s_and_saveexec_b64 s[10:11], s[0:1]
	s_cbranch_execz .LBB8_552
; %bb.550:
	v_mov_b32_e32 v6, 0
	global_load_dwordx2 v[0:1], v6, s[2:3] offset:40
	global_load_dwordx2 v[9:10], v6, s[2:3] offset:24 glc
	global_load_dwordx2 v[2:3], v6, s[2:3]
	s_waitcnt vmcnt(2)
	v_readfirstlane_b32 s12, v0
	v_readfirstlane_b32 s13, v1
	s_add_u32 s14, s12, 1
	s_addc_u32 s15, s13, 0
	s_add_u32 s0, s14, s8
	s_addc_u32 s1, s15, s9
	s_cmp_eq_u64 s[0:1], 0
	s_cselect_b32 s1, s15, s1
	s_cselect_b32 s0, s14, s0
	s_and_b64 s[8:9], s[0:1], s[12:13]
	s_mul_i32 s9, s9, 24
	s_mul_hi_u32 s12, s8, 24
	s_mul_i32 s8, s8, 24
	s_add_i32 s9, s12, s9
	v_mov_b32_e32 v0, s9
	s_waitcnt vmcnt(0)
	v_add_co_u32_e32 v4, vcc, s8, v2
	v_addc_co_u32_e32 v5, vcc, v3, v0, vcc
	v_mov_b32_e32 v7, s0
	global_store_dwordx2 v[4:5], v[9:10], off
	v_mov_b32_e32 v8, s1
	s_waitcnt vmcnt(0)
	global_atomic_cmpswap_x2 v[2:3], v6, v[7:10], s[2:3] offset:24 glc
	s_mov_b64 s[8:9], 0
	s_waitcnt vmcnt(0)
	v_cmp_ne_u64_e32 vcc, v[2:3], v[9:10]
	s_and_b64 exec, exec, vcc
	s_cbranch_execz .LBB8_552
.LBB8_551:                              ; =>This Inner Loop Header: Depth=1
	s_sleep 1
	global_store_dwordx2 v[4:5], v[2:3], off
	v_mov_b32_e32 v0, s0
	v_mov_b32_e32 v1, s1
	s_waitcnt vmcnt(0)
	global_atomic_cmpswap_x2 v[0:1], v6, v[0:3], s[2:3] offset:24 glc
	s_waitcnt vmcnt(0)
	v_cmp_eq_u64_e32 vcc, v[0:1], v[2:3]
	v_mov_b32_e32 v3, v1
	s_or_b64 s[8:9], vcc, s[8:9]
	v_mov_b32_e32 v2, v0
	s_andn2_b64 exec, exec, s[8:9]
	s_cbranch_execnz .LBB8_551
.LBB8_552:
	s_or_b64 exec, exec, s[10:11]
	v_readfirstlane_b32 s0, v30
	v_mov_b32_e32 v5, 0
	v_mov_b32_e32 v6, 0
	v_cmp_eq_u32_e64 s[0:1], s0, v30
	s_waitcnt vmcnt(0) lgkmcnt(0)
	s_barrier
	s_and_saveexec_b64 s[8:9], s[0:1]
	s_cbranch_execz .LBB8_558
; %bb.553:
	v_mov_b32_e32 v0, 0
	global_load_dwordx2 v[3:4], v0, s[2:3] offset:24 glc
	s_waitcnt vmcnt(0)
	buffer_wbinvl1_vol
	global_load_dwordx2 v[1:2], v0, s[2:3] offset:40
	global_load_dwordx2 v[5:6], v0, s[2:3]
	s_waitcnt vmcnt(1)
	v_and_b32_e32 v1, v1, v3
	v_and_b32_e32 v2, v2, v4
	v_mul_lo_u32 v2, v2, 24
	v_mul_hi_u32 v7, v1, 24
	v_mul_lo_u32 v1, v1, 24
	v_add_u32_e32 v2, v7, v2
	s_waitcnt vmcnt(0)
	v_add_co_u32_e32 v1, vcc, v5, v1
	v_addc_co_u32_e32 v2, vcc, v6, v2, vcc
	global_load_dwordx2 v[1:2], v[1:2], off glc
	s_waitcnt vmcnt(0)
	global_atomic_cmpswap_x2 v[5:6], v0, v[1:4], s[2:3] offset:24 glc
	s_waitcnt vmcnt(0)
	buffer_wbinvl1_vol
	v_cmp_ne_u64_e32 vcc, v[5:6], v[3:4]
	s_and_saveexec_b64 s[10:11], vcc
	s_cbranch_execz .LBB8_557
; %bb.554:
	s_mov_b64 s[12:13], 0
.LBB8_555:                              ; =>This Inner Loop Header: Depth=1
	s_sleep 1
	global_load_dwordx2 v[1:2], v0, s[2:3] offset:40
	global_load_dwordx2 v[7:8], v0, s[2:3]
	v_mov_b32_e32 v3, v5
	v_mov_b32_e32 v4, v6
	s_waitcnt vmcnt(1)
	v_and_b32_e32 v1, v1, v3
	s_waitcnt vmcnt(0)
	v_mad_u64_u32 v[5:6], s[14:15], v1, 24, v[7:8]
	v_and_b32_e32 v2, v2, v4
	v_mov_b32_e32 v1, v6
	v_mad_u64_u32 v[1:2], s[14:15], v2, 24, v[1:2]
	v_mov_b32_e32 v6, v1
	global_load_dwordx2 v[1:2], v[5:6], off glc
	s_waitcnt vmcnt(0)
	global_atomic_cmpswap_x2 v[5:6], v0, v[1:4], s[2:3] offset:24 glc
	s_waitcnt vmcnt(0)
	buffer_wbinvl1_vol
	v_cmp_eq_u64_e32 vcc, v[5:6], v[3:4]
	s_or_b64 s[12:13], vcc, s[12:13]
	s_andn2_b64 exec, exec, s[12:13]
	s_cbranch_execnz .LBB8_555
; %bb.556:
	s_or_b64 exec, exec, s[12:13]
.LBB8_557:
	s_or_b64 exec, exec, s[10:11]
.LBB8_558:
	s_or_b64 exec, exec, s[8:9]
	v_mov_b32_e32 v4, 0
	global_load_dwordx2 v[7:8], v4, s[2:3] offset:40
	global_load_dwordx4 v[0:3], v4, s[2:3]
	v_readfirstlane_b32 s9, v6
	v_readfirstlane_b32 s8, v5
	s_mov_b64 s[10:11], exec
	s_waitcnt vmcnt(1)
	v_readfirstlane_b32 s12, v7
	v_readfirstlane_b32 s13, v8
	s_and_b64 s[12:13], s[12:13], s[8:9]
	s_mul_i32 s14, s13, 24
	s_mul_hi_u32 s15, s12, 24
	s_mul_i32 s16, s12, 24
	s_add_i32 s14, s15, s14
	v_mov_b32_e32 v5, s14
	s_waitcnt vmcnt(0)
	v_add_co_u32_e32 v7, vcc, s16, v0
	v_addc_co_u32_e32 v8, vcc, v1, v5, vcc
	s_and_saveexec_b64 s[14:15], s[0:1]
	s_cbranch_execz .LBB8_560
; %bb.559:
	v_mov_b32_e32 v9, s10
	v_mov_b32_e32 v10, s11
	;; [unrolled: 1-line block ×4, first 2 shown]
	global_store_dwordx4 v[7:8], v[9:12], off offset:8
.LBB8_560:
	s_or_b64 exec, exec, s[14:15]
	s_lshl_b64 s[10:11], s[12:13], 12
	v_mov_b32_e32 v5, s11
	v_add_co_u32_e32 v2, vcc, s10, v2
	v_addc_co_u32_e32 v11, vcc, v3, v5, vcc
	s_mov_b32 s12, 0
	v_mov_b32_e32 v3, 33
	v_mov_b32_e32 v5, v4
	;; [unrolled: 1-line block ×3, first 2 shown]
	v_readfirstlane_b32 s10, v2
	v_readfirstlane_b32 s11, v11
	v_add_co_u32_e32 v9, vcc, v2, v29
	s_mov_b32 s13, s12
	s_mov_b32 s14, s12
	s_mov_b32 s15, s12
	s_nop 0
	global_store_dwordx4 v29, v[3:6], s[10:11]
	v_mov_b32_e32 v2, s12
	v_addc_co_u32_e32 v10, vcc, 0, v11, vcc
	v_mov_b32_e32 v3, s13
	v_mov_b32_e32 v4, s14
	v_mov_b32_e32 v5, s15
	global_store_dwordx4 v29, v[2:5], s[10:11] offset:16
	global_store_dwordx4 v29, v[2:5], s[10:11] offset:32
	;; [unrolled: 1-line block ×3, first 2 shown]
	s_and_saveexec_b64 s[10:11], s[0:1]
	s_cbranch_execz .LBB8_568
; %bb.561:
	v_mov_b32_e32 v6, 0
	global_load_dwordx2 v[13:14], v6, s[2:3] offset:32 glc
	global_load_dwordx2 v[2:3], v6, s[2:3] offset:40
	v_mov_b32_e32 v11, s8
	v_mov_b32_e32 v12, s9
	s_waitcnt vmcnt(0)
	v_readfirstlane_b32 s12, v2
	v_readfirstlane_b32 s13, v3
	s_and_b64 s[12:13], s[12:13], s[8:9]
	s_mul_i32 s13, s13, 24
	s_mul_hi_u32 s14, s12, 24
	s_mul_i32 s12, s12, 24
	s_add_i32 s13, s14, s13
	v_mov_b32_e32 v2, s13
	v_add_co_u32_e32 v4, vcc, s12, v0
	v_addc_co_u32_e32 v5, vcc, v1, v2, vcc
	global_store_dwordx2 v[4:5], v[13:14], off
	s_waitcnt vmcnt(0)
	global_atomic_cmpswap_x2 v[2:3], v6, v[11:14], s[2:3] offset:32 glc
	s_waitcnt vmcnt(0)
	v_cmp_ne_u64_e32 vcc, v[2:3], v[13:14]
	s_and_saveexec_b64 s[12:13], vcc
	s_cbranch_execz .LBB8_564
; %bb.562:
	s_mov_b64 s[14:15], 0
.LBB8_563:                              ; =>This Inner Loop Header: Depth=1
	s_sleep 1
	global_store_dwordx2 v[4:5], v[2:3], off
	v_mov_b32_e32 v0, s8
	v_mov_b32_e32 v1, s9
	s_waitcnt vmcnt(0)
	global_atomic_cmpswap_x2 v[0:1], v6, v[0:3], s[2:3] offset:32 glc
	s_waitcnt vmcnt(0)
	v_cmp_eq_u64_e32 vcc, v[0:1], v[2:3]
	v_mov_b32_e32 v3, v1
	s_or_b64 s[14:15], vcc, s[14:15]
	v_mov_b32_e32 v2, v0
	s_andn2_b64 exec, exec, s[14:15]
	s_cbranch_execnz .LBB8_563
.LBB8_564:
	s_or_b64 exec, exec, s[12:13]
	v_mov_b32_e32 v3, 0
	global_load_dwordx2 v[0:1], v3, s[2:3] offset:16
	s_mov_b64 s[12:13], exec
	v_mbcnt_lo_u32_b32 v2, s12, 0
	v_mbcnt_hi_u32_b32 v2, s13, v2
	v_cmp_eq_u32_e32 vcc, 0, v2
	s_and_saveexec_b64 s[14:15], vcc
	s_cbranch_execz .LBB8_566
; %bb.565:
	s_bcnt1_i32_b64 s12, s[12:13]
	v_mov_b32_e32 v2, s12
	s_waitcnt vmcnt(0)
	global_atomic_add_x2 v[0:1], v[2:3], off offset:8
.LBB8_566:
	s_or_b64 exec, exec, s[14:15]
	s_waitcnt vmcnt(0)
	global_load_dwordx2 v[2:3], v[0:1], off offset:16
	s_waitcnt vmcnt(0)
	v_cmp_eq_u64_e32 vcc, 0, v[2:3]
	s_cbranch_vccnz .LBB8_568
; %bb.567:
	global_load_dword v0, v[0:1], off offset:24
	v_mov_b32_e32 v1, 0
	s_waitcnt vmcnt(0)
	v_readfirstlane_b32 s12, v0
	s_and_b32 m0, s12, 0xffffff
	global_store_dwordx2 v[2:3], v[0:1], off
	s_sendmsg sendmsg(MSG_INTERRUPT)
.LBB8_568:
	s_or_b64 exec, exec, s[10:11]
	s_branch .LBB8_572
.LBB8_569:                              ;   in Loop: Header=BB8_572 Depth=1
	s_or_b64 exec, exec, s[10:11]
	v_readfirstlane_b32 s10, v0
	s_cmp_eq_u32 s10, 0
	s_cbranch_scc1 .LBB8_571
; %bb.570:                              ;   in Loop: Header=BB8_572 Depth=1
	s_sleep 1
	s_cbranch_execnz .LBB8_572
	s_branch .LBB8_574
.LBB8_571:
	s_branch .LBB8_574
.LBB8_572:                              ; =>This Inner Loop Header: Depth=1
	v_mov_b32_e32 v0, 1
	s_and_saveexec_b64 s[10:11], s[0:1]
	s_cbranch_execz .LBB8_569
; %bb.573:                              ;   in Loop: Header=BB8_572 Depth=1
	global_load_dword v0, v[7:8], off offset:20 glc
	s_waitcnt vmcnt(0)
	buffer_wbinvl1_vol
	v_and_b32_e32 v0, 1, v0
	s_branch .LBB8_569
.LBB8_574:
	global_load_dwordx2 v[4:5], v[9:10], off
	s_and_saveexec_b64 s[10:11], s[0:1]
	s_cbranch_execz .LBB8_577
; %bb.575:
	v_mov_b32_e32 v8, 0
	global_load_dwordx2 v[0:1], v8, s[2:3] offset:40
	global_load_dwordx2 v[11:12], v8, s[2:3] offset:24 glc
	global_load_dwordx2 v[2:3], v8, s[2:3]
	s_waitcnt vmcnt(2)
	v_readfirstlane_b32 s12, v0
	v_readfirstlane_b32 s13, v1
	s_add_u32 s14, s12, 1
	s_addc_u32 s15, s13, 0
	s_add_u32 s0, s14, s8
	s_addc_u32 s1, s15, s9
	s_cmp_eq_u64 s[0:1], 0
	s_cselect_b32 s1, s15, s1
	s_cselect_b32 s0, s14, s0
	s_and_b64 s[8:9], s[0:1], s[12:13]
	s_mul_i32 s9, s9, 24
	s_mul_hi_u32 s12, s8, 24
	s_mul_i32 s8, s8, 24
	s_add_i32 s9, s12, s9
	v_mov_b32_e32 v0, s9
	s_waitcnt vmcnt(0)
	v_add_co_u32_e32 v6, vcc, s8, v2
	v_addc_co_u32_e32 v7, vcc, v3, v0, vcc
	v_mov_b32_e32 v9, s0
	global_store_dwordx2 v[6:7], v[11:12], off
	v_mov_b32_e32 v10, s1
	s_waitcnt vmcnt(0)
	global_atomic_cmpswap_x2 v[2:3], v8, v[9:12], s[2:3] offset:24 glc
	s_mov_b64 s[8:9], 0
	s_waitcnt vmcnt(0)
	v_cmp_ne_u64_e32 vcc, v[2:3], v[11:12]
	s_and_b64 exec, exec, vcc
	s_cbranch_execz .LBB8_577
.LBB8_576:                              ; =>This Inner Loop Header: Depth=1
	s_sleep 1
	global_store_dwordx2 v[6:7], v[2:3], off
	v_mov_b32_e32 v0, s0
	v_mov_b32_e32 v1, s1
	s_waitcnt vmcnt(0)
	global_atomic_cmpswap_x2 v[0:1], v8, v[0:3], s[2:3] offset:24 glc
	s_waitcnt vmcnt(0)
	v_cmp_eq_u64_e32 vcc, v[0:1], v[2:3]
	v_mov_b32_e32 v3, v1
	s_or_b64 s[8:9], vcc, s[8:9]
	v_mov_b32_e32 v2, v0
	s_andn2_b64 exec, exec, s[8:9]
	s_cbranch_execnz .LBB8_576
.LBB8_577:
	s_or_b64 exec, exec, s[10:11]
	s_and_b64 vcc, exec, s[4:5]
	s_cbranch_vccz .LBB8_749
; %bb.578:
	s_waitcnt vmcnt(0)
	v_and_b32_e32 v31, 2, v4
	v_mov_b32_e32 v26, 0
	v_and_b32_e32 v0, -3, v4
	v_mov_b32_e32 v1, v5
	s_mov_b64 s[8:9], 6
	v_mov_b32_e32 v8, 2
	v_mov_b32_e32 v9, 1
	s_getpc_b64 s[4:5]
	s_add_u32 s4, s4, .str.7@rel32@lo+4
	s_addc_u32 s5, s5, .str.7@rel32@hi+12
	s_branch .LBB8_580
.LBB8_579:                              ;   in Loop: Header=BB8_580 Depth=1
	s_or_b64 exec, exec, s[14:15]
	s_sub_u32 s8, s8, s10
	s_subb_u32 s9, s9, s11
	s_add_u32 s4, s4, s10
	s_addc_u32 s5, s5, s11
	s_cmp_lg_u64 s[8:9], 0
	s_cbranch_scc0 .LBB8_662
.LBB8_580:                              ; =>This Loop Header: Depth=1
                                        ;     Child Loop BB8_583 Depth 2
                                        ;     Child Loop BB8_591 Depth 2
	;; [unrolled: 1-line block ×11, first 2 shown]
	v_cmp_lt_u64_e64 s[0:1], s[8:9], 56
	v_cmp_gt_u64_e64 s[12:13], s[8:9], 7
	s_and_b64 s[0:1], s[0:1], exec
	s_cselect_b32 s11, s9, 0
	s_cselect_b32 s10, s8, 56
	s_add_u32 s0, s4, 8
	s_addc_u32 s1, s5, 0
	s_and_b64 vcc, exec, s[12:13]
	s_cbranch_vccnz .LBB8_584
; %bb.581:                              ;   in Loop: Header=BB8_580 Depth=1
	s_cmp_eq_u64 s[8:9], 0
	s_cbranch_scc1 .LBB8_585
; %bb.582:                              ;   in Loop: Header=BB8_580 Depth=1
	v_mov_b32_e32 v2, 0
	s_lshl_b64 s[0:1], s[10:11], 3
	s_mov_b64 s[12:13], 0
	v_mov_b32_e32 v3, 0
	s_mov_b64 s[14:15], s[4:5]
.LBB8_583:                              ;   Parent Loop BB8_580 Depth=1
                                        ; =>  This Inner Loop Header: Depth=2
	global_load_ubyte v6, v26, s[14:15]
	s_waitcnt vmcnt(0)
	v_and_b32_e32 v25, 0xffff, v6
	v_lshlrev_b64 v[6:7], s12, v[25:26]
	s_add_u32 s12, s12, 8
	s_addc_u32 s13, s13, 0
	s_add_u32 s14, s14, 1
	s_addc_u32 s15, s15, 0
	v_or_b32_e32 v2, v6, v2
	s_cmp_lg_u32 s0, s12
	v_or_b32_e32 v3, v7, v3
	s_cbranch_scc1 .LBB8_583
	s_branch .LBB8_586
.LBB8_584:                              ;   in Loop: Header=BB8_580 Depth=1
	s_mov_b32 s16, 0
	s_branch .LBB8_587
.LBB8_585:                              ;   in Loop: Header=BB8_580 Depth=1
	v_mov_b32_e32 v2, 0
	v_mov_b32_e32 v3, 0
.LBB8_586:                              ;   in Loop: Header=BB8_580 Depth=1
	s_mov_b64 s[0:1], s[4:5]
	s_mov_b32 s16, 0
	s_cbranch_execnz .LBB8_588
.LBB8_587:                              ;   in Loop: Header=BB8_580 Depth=1
	global_load_dwordx2 v[2:3], v26, s[4:5]
	s_add_i32 s16, s10, -8
.LBB8_588:                              ;   in Loop: Header=BB8_580 Depth=1
	s_add_u32 s12, s0, 8
	s_addc_u32 s13, s1, 0
	s_cmp_gt_u32 s16, 7
	s_cbranch_scc1 .LBB8_592
; %bb.589:                              ;   in Loop: Header=BB8_580 Depth=1
	s_cmp_eq_u32 s16, 0
	s_cbranch_scc1 .LBB8_593
; %bb.590:                              ;   in Loop: Header=BB8_580 Depth=1
	v_mov_b32_e32 v10, 0
	s_mov_b64 s[12:13], 0
	v_mov_b32_e32 v11, 0
	s_mov_b64 s[14:15], 0
.LBB8_591:                              ;   Parent Loop BB8_580 Depth=1
                                        ; =>  This Inner Loop Header: Depth=2
	s_add_u32 s18, s0, s14
	s_addc_u32 s19, s1, s15
	global_load_ubyte v6, v26, s[18:19]
	s_add_u32 s14, s14, 1
	s_addc_u32 s15, s15, 0
	s_waitcnt vmcnt(0)
	v_and_b32_e32 v25, 0xffff, v6
	v_lshlrev_b64 v[6:7], s12, v[25:26]
	s_add_u32 s12, s12, 8
	s_addc_u32 s13, s13, 0
	v_or_b32_e32 v10, v6, v10
	s_cmp_lg_u32 s16, s14
	v_or_b32_e32 v11, v7, v11
	s_cbranch_scc1 .LBB8_591
	s_branch .LBB8_594
.LBB8_592:                              ;   in Loop: Header=BB8_580 Depth=1
                                        ; implicit-def: $vgpr10_vgpr11
	s_mov_b32 s17, 0
	s_branch .LBB8_595
.LBB8_593:                              ;   in Loop: Header=BB8_580 Depth=1
	v_mov_b32_e32 v10, 0
	v_mov_b32_e32 v11, 0
.LBB8_594:                              ;   in Loop: Header=BB8_580 Depth=1
	s_mov_b64 s[12:13], s[0:1]
	s_mov_b32 s17, 0
	s_cbranch_execnz .LBB8_596
.LBB8_595:                              ;   in Loop: Header=BB8_580 Depth=1
	global_load_dwordx2 v[10:11], v26, s[0:1]
	s_add_i32 s17, s16, -8
.LBB8_596:                              ;   in Loop: Header=BB8_580 Depth=1
	s_add_u32 s0, s12, 8
	s_addc_u32 s1, s13, 0
	s_cmp_gt_u32 s17, 7
	s_cbranch_scc1 .LBB8_600
; %bb.597:                              ;   in Loop: Header=BB8_580 Depth=1
	s_cmp_eq_u32 s17, 0
	s_cbranch_scc1 .LBB8_601
; %bb.598:                              ;   in Loop: Header=BB8_580 Depth=1
	v_mov_b32_e32 v12, 0
	s_mov_b64 s[0:1], 0
	v_mov_b32_e32 v13, 0
	s_mov_b64 s[14:15], 0
.LBB8_599:                              ;   Parent Loop BB8_580 Depth=1
                                        ; =>  This Inner Loop Header: Depth=2
	s_add_u32 s18, s12, s14
	s_addc_u32 s19, s13, s15
	global_load_ubyte v6, v26, s[18:19]
	s_add_u32 s14, s14, 1
	s_addc_u32 s15, s15, 0
	s_waitcnt vmcnt(0)
	v_and_b32_e32 v25, 0xffff, v6
	v_lshlrev_b64 v[6:7], s0, v[25:26]
	s_add_u32 s0, s0, 8
	s_addc_u32 s1, s1, 0
	v_or_b32_e32 v12, v6, v12
	s_cmp_lg_u32 s17, s14
	v_or_b32_e32 v13, v7, v13
	s_cbranch_scc1 .LBB8_599
	s_branch .LBB8_602
.LBB8_600:                              ;   in Loop: Header=BB8_580 Depth=1
	s_mov_b32 s16, 0
	s_branch .LBB8_603
.LBB8_601:                              ;   in Loop: Header=BB8_580 Depth=1
	v_mov_b32_e32 v12, 0
	v_mov_b32_e32 v13, 0
.LBB8_602:                              ;   in Loop: Header=BB8_580 Depth=1
	s_mov_b64 s[0:1], s[12:13]
	s_mov_b32 s16, 0
	s_cbranch_execnz .LBB8_604
.LBB8_603:                              ;   in Loop: Header=BB8_580 Depth=1
	global_load_dwordx2 v[12:13], v26, s[12:13]
	s_add_i32 s16, s17, -8
.LBB8_604:                              ;   in Loop: Header=BB8_580 Depth=1
	s_add_u32 s12, s0, 8
	s_addc_u32 s13, s1, 0
	s_cmp_gt_u32 s16, 7
	s_cbranch_scc1 .LBB8_608
; %bb.605:                              ;   in Loop: Header=BB8_580 Depth=1
	s_cmp_eq_u32 s16, 0
	s_cbranch_scc1 .LBB8_609
; %bb.606:                              ;   in Loop: Header=BB8_580 Depth=1
	v_mov_b32_e32 v14, 0
	s_mov_b64 s[12:13], 0
	v_mov_b32_e32 v15, 0
	s_mov_b64 s[14:15], 0
.LBB8_607:                              ;   Parent Loop BB8_580 Depth=1
                                        ; =>  This Inner Loop Header: Depth=2
	s_add_u32 s18, s0, s14
	s_addc_u32 s19, s1, s15
	global_load_ubyte v6, v26, s[18:19]
	s_add_u32 s14, s14, 1
	s_addc_u32 s15, s15, 0
	s_waitcnt vmcnt(0)
	v_and_b32_e32 v25, 0xffff, v6
	v_lshlrev_b64 v[6:7], s12, v[25:26]
	s_add_u32 s12, s12, 8
	s_addc_u32 s13, s13, 0
	v_or_b32_e32 v14, v6, v14
	s_cmp_lg_u32 s16, s14
	v_or_b32_e32 v15, v7, v15
	s_cbranch_scc1 .LBB8_607
	s_branch .LBB8_610
.LBB8_608:                              ;   in Loop: Header=BB8_580 Depth=1
                                        ; implicit-def: $vgpr14_vgpr15
	s_mov_b32 s17, 0
	s_branch .LBB8_611
.LBB8_609:                              ;   in Loop: Header=BB8_580 Depth=1
	v_mov_b32_e32 v14, 0
	v_mov_b32_e32 v15, 0
.LBB8_610:                              ;   in Loop: Header=BB8_580 Depth=1
	s_mov_b64 s[12:13], s[0:1]
	s_mov_b32 s17, 0
	s_cbranch_execnz .LBB8_612
.LBB8_611:                              ;   in Loop: Header=BB8_580 Depth=1
	global_load_dwordx2 v[14:15], v26, s[0:1]
	s_add_i32 s17, s16, -8
.LBB8_612:                              ;   in Loop: Header=BB8_580 Depth=1
	s_add_u32 s0, s12, 8
	s_addc_u32 s1, s13, 0
	s_cmp_gt_u32 s17, 7
	s_cbranch_scc1 .LBB8_616
; %bb.613:                              ;   in Loop: Header=BB8_580 Depth=1
	s_cmp_eq_u32 s17, 0
	s_cbranch_scc1 .LBB8_617
; %bb.614:                              ;   in Loop: Header=BB8_580 Depth=1
	v_mov_b32_e32 v16, 0
	s_mov_b64 s[0:1], 0
	v_mov_b32_e32 v17, 0
	s_mov_b64 s[14:15], 0
.LBB8_615:                              ;   Parent Loop BB8_580 Depth=1
                                        ; =>  This Inner Loop Header: Depth=2
	s_add_u32 s18, s12, s14
	s_addc_u32 s19, s13, s15
	global_load_ubyte v6, v26, s[18:19]
	s_add_u32 s14, s14, 1
	s_addc_u32 s15, s15, 0
	s_waitcnt vmcnt(0)
	v_and_b32_e32 v25, 0xffff, v6
	v_lshlrev_b64 v[6:7], s0, v[25:26]
	s_add_u32 s0, s0, 8
	s_addc_u32 s1, s1, 0
	v_or_b32_e32 v16, v6, v16
	s_cmp_lg_u32 s17, s14
	v_or_b32_e32 v17, v7, v17
	s_cbranch_scc1 .LBB8_615
	s_branch .LBB8_618
.LBB8_616:                              ;   in Loop: Header=BB8_580 Depth=1
	s_mov_b32 s16, 0
	s_branch .LBB8_619
.LBB8_617:                              ;   in Loop: Header=BB8_580 Depth=1
	v_mov_b32_e32 v16, 0
	v_mov_b32_e32 v17, 0
.LBB8_618:                              ;   in Loop: Header=BB8_580 Depth=1
	s_mov_b64 s[0:1], s[12:13]
	s_mov_b32 s16, 0
	s_cbranch_execnz .LBB8_620
.LBB8_619:                              ;   in Loop: Header=BB8_580 Depth=1
	global_load_dwordx2 v[16:17], v26, s[12:13]
	s_add_i32 s16, s17, -8
.LBB8_620:                              ;   in Loop: Header=BB8_580 Depth=1
	s_add_u32 s12, s0, 8
	s_addc_u32 s13, s1, 0
	s_cmp_gt_u32 s16, 7
	s_cbranch_scc1 .LBB8_624
; %bb.621:                              ;   in Loop: Header=BB8_580 Depth=1
	s_cmp_eq_u32 s16, 0
	s_cbranch_scc1 .LBB8_625
; %bb.622:                              ;   in Loop: Header=BB8_580 Depth=1
	v_mov_b32_e32 v18, 0
	s_mov_b64 s[12:13], 0
	v_mov_b32_e32 v19, 0
	s_mov_b64 s[14:15], 0
.LBB8_623:                              ;   Parent Loop BB8_580 Depth=1
                                        ; =>  This Inner Loop Header: Depth=2
	s_add_u32 s18, s0, s14
	s_addc_u32 s19, s1, s15
	global_load_ubyte v6, v26, s[18:19]
	s_add_u32 s14, s14, 1
	s_addc_u32 s15, s15, 0
	s_waitcnt vmcnt(0)
	v_and_b32_e32 v25, 0xffff, v6
	v_lshlrev_b64 v[6:7], s12, v[25:26]
	s_add_u32 s12, s12, 8
	s_addc_u32 s13, s13, 0
	v_or_b32_e32 v18, v6, v18
	s_cmp_lg_u32 s16, s14
	v_or_b32_e32 v19, v7, v19
	s_cbranch_scc1 .LBB8_623
	s_branch .LBB8_626
.LBB8_624:                              ;   in Loop: Header=BB8_580 Depth=1
                                        ; implicit-def: $vgpr18_vgpr19
	s_mov_b32 s17, 0
	s_branch .LBB8_627
.LBB8_625:                              ;   in Loop: Header=BB8_580 Depth=1
	v_mov_b32_e32 v18, 0
	v_mov_b32_e32 v19, 0
.LBB8_626:                              ;   in Loop: Header=BB8_580 Depth=1
	s_mov_b64 s[12:13], s[0:1]
	s_mov_b32 s17, 0
	s_cbranch_execnz .LBB8_628
.LBB8_627:                              ;   in Loop: Header=BB8_580 Depth=1
	global_load_dwordx2 v[18:19], v26, s[0:1]
	s_add_i32 s17, s16, -8
.LBB8_628:                              ;   in Loop: Header=BB8_580 Depth=1
	s_cmp_gt_u32 s17, 7
	s_cbranch_scc1 .LBB8_632
; %bb.629:                              ;   in Loop: Header=BB8_580 Depth=1
	s_cmp_eq_u32 s17, 0
	s_cbranch_scc1 .LBB8_633
; %bb.630:                              ;   in Loop: Header=BB8_580 Depth=1
	v_mov_b32_e32 v20, 0
	s_mov_b64 s[0:1], 0
	v_mov_b32_e32 v21, 0
	s_mov_b64 s[14:15], s[12:13]
.LBB8_631:                              ;   Parent Loop BB8_580 Depth=1
                                        ; =>  This Inner Loop Header: Depth=2
	global_load_ubyte v6, v26, s[14:15]
	s_add_i32 s17, s17, -1
	s_waitcnt vmcnt(0)
	v_and_b32_e32 v25, 0xffff, v6
	v_lshlrev_b64 v[6:7], s0, v[25:26]
	s_add_u32 s0, s0, 8
	s_addc_u32 s1, s1, 0
	s_add_u32 s14, s14, 1
	s_addc_u32 s15, s15, 0
	v_or_b32_e32 v20, v6, v20
	s_cmp_lg_u32 s17, 0
	v_or_b32_e32 v21, v7, v21
	s_cbranch_scc1 .LBB8_631
	s_branch .LBB8_634
.LBB8_632:                              ;   in Loop: Header=BB8_580 Depth=1
	s_branch .LBB8_635
.LBB8_633:                              ;   in Loop: Header=BB8_580 Depth=1
	v_mov_b32_e32 v20, 0
	v_mov_b32_e32 v21, 0
.LBB8_634:                              ;   in Loop: Header=BB8_580 Depth=1
	s_cbranch_execnz .LBB8_636
.LBB8_635:                              ;   in Loop: Header=BB8_580 Depth=1
	global_load_dwordx2 v[20:21], v26, s[12:13]
.LBB8_636:                              ;   in Loop: Header=BB8_580 Depth=1
	v_readfirstlane_b32 s0, v30
	v_mov_b32_e32 v6, 0
	v_mov_b32_e32 v7, 0
	v_cmp_eq_u32_e64 s[0:1], s0, v30
	s_and_saveexec_b64 s[12:13], s[0:1]
	s_cbranch_execz .LBB8_642
; %bb.637:                              ;   in Loop: Header=BB8_580 Depth=1
	global_load_dwordx2 v[24:25], v26, s[2:3] offset:24 glc
	s_waitcnt vmcnt(0)
	buffer_wbinvl1_vol
	global_load_dwordx2 v[6:7], v26, s[2:3] offset:40
	global_load_dwordx2 v[22:23], v26, s[2:3]
	s_waitcnt vmcnt(1)
	v_and_b32_e32 v6, v6, v24
	v_and_b32_e32 v7, v7, v25
	v_mul_lo_u32 v7, v7, 24
	v_mul_hi_u32 v27, v6, 24
	v_mul_lo_u32 v6, v6, 24
	v_add_u32_e32 v7, v27, v7
	s_waitcnt vmcnt(0)
	v_add_co_u32_e32 v6, vcc, v22, v6
	v_addc_co_u32_e32 v7, vcc, v23, v7, vcc
	global_load_dwordx2 v[22:23], v[6:7], off glc
	s_waitcnt vmcnt(0)
	global_atomic_cmpswap_x2 v[6:7], v26, v[22:25], s[2:3] offset:24 glc
	s_waitcnt vmcnt(0)
	buffer_wbinvl1_vol
	v_cmp_ne_u64_e32 vcc, v[6:7], v[24:25]
	s_and_saveexec_b64 s[14:15], vcc
	s_cbranch_execz .LBB8_641
; %bb.638:                              ;   in Loop: Header=BB8_580 Depth=1
	s_mov_b64 s[16:17], 0
.LBB8_639:                              ;   Parent Loop BB8_580 Depth=1
                                        ; =>  This Inner Loop Header: Depth=2
	s_sleep 1
	global_load_dwordx2 v[22:23], v26, s[2:3] offset:40
	global_load_dwordx2 v[27:28], v26, s[2:3]
	v_mov_b32_e32 v25, v7
	v_mov_b32_e32 v24, v6
	s_waitcnt vmcnt(1)
	v_and_b32_e32 v6, v22, v24
	s_waitcnt vmcnt(0)
	v_mad_u64_u32 v[6:7], s[18:19], v6, 24, v[27:28]
	v_and_b32_e32 v22, v23, v25
	v_mad_u64_u32 v[22:23], s[18:19], v22, 24, v[7:8]
	v_mov_b32_e32 v7, v22
	global_load_dwordx2 v[22:23], v[6:7], off glc
	s_waitcnt vmcnt(0)
	global_atomic_cmpswap_x2 v[6:7], v26, v[22:25], s[2:3] offset:24 glc
	s_waitcnt vmcnt(0)
	buffer_wbinvl1_vol
	v_cmp_eq_u64_e32 vcc, v[6:7], v[24:25]
	s_or_b64 s[16:17], vcc, s[16:17]
	s_andn2_b64 exec, exec, s[16:17]
	s_cbranch_execnz .LBB8_639
; %bb.640:                              ;   in Loop: Header=BB8_580 Depth=1
	s_or_b64 exec, exec, s[16:17]
.LBB8_641:                              ;   in Loop: Header=BB8_580 Depth=1
	s_or_b64 exec, exec, s[14:15]
.LBB8_642:                              ;   in Loop: Header=BB8_580 Depth=1
	s_or_b64 exec, exec, s[12:13]
	global_load_dwordx2 v[27:28], v26, s[2:3] offset:40
	global_load_dwordx4 v[22:25], v26, s[2:3]
	v_readfirstlane_b32 s13, v7
	v_readfirstlane_b32 s12, v6
	s_mov_b64 s[14:15], exec
	s_waitcnt vmcnt(1)
	v_readfirstlane_b32 s16, v27
	v_readfirstlane_b32 s17, v28
	s_and_b64 s[16:17], s[16:17], s[12:13]
	s_mul_i32 s18, s17, 24
	s_mul_hi_u32 s19, s16, 24
	s_mul_i32 s20, s16, 24
	s_add_i32 s18, s19, s18
	v_mov_b32_e32 v6, s18
	s_waitcnt vmcnt(0)
	v_add_co_u32_e32 v27, vcc, s20, v22
	v_addc_co_u32_e32 v28, vcc, v23, v6, vcc
	s_and_saveexec_b64 s[18:19], s[0:1]
	s_cbranch_execz .LBB8_644
; %bb.643:                              ;   in Loop: Header=BB8_580 Depth=1
	v_mov_b32_e32 v6, s14
	v_mov_b32_e32 v7, s15
	global_store_dwordx4 v[27:28], v[6:9], off offset:8
.LBB8_644:                              ;   in Loop: Header=BB8_580 Depth=1
	s_or_b64 exec, exec, s[18:19]
	s_lshl_b64 s[14:15], s[16:17], 12
	v_mov_b32_e32 v6, s15
	v_add_co_u32_e32 v24, vcc, s14, v24
	v_addc_co_u32_e32 v32, vcc, v25, v6, vcc
	v_cmp_lt_u64_e64 vcc, s[8:9], 57
	s_lshl_b32 s14, s10, 2
	v_cndmask_b32_e32 v6, 0, v31, vcc
	s_add_i32 s14, s14, 28
	v_and_b32_e32 v0, 0xffffff1f, v0
	s_and_b32 s14, s14, 0x1e0
	v_or_b32_e32 v0, v0, v6
	v_or_b32_e32 v0, s14, v0
	v_readfirstlane_b32 s14, v24
	v_readfirstlane_b32 s15, v32
	s_nop 4
	global_store_dwordx4 v29, v[0:3], s[14:15]
	global_store_dwordx4 v29, v[10:13], s[14:15] offset:16
	global_store_dwordx4 v29, v[14:17], s[14:15] offset:32
	;; [unrolled: 1-line block ×3, first 2 shown]
	s_and_saveexec_b64 s[14:15], s[0:1]
	s_cbranch_execz .LBB8_652
; %bb.645:                              ;   in Loop: Header=BB8_580 Depth=1
	global_load_dwordx2 v[12:13], v26, s[2:3] offset:32 glc
	global_load_dwordx2 v[0:1], v26, s[2:3] offset:40
	v_mov_b32_e32 v10, s12
	v_mov_b32_e32 v11, s13
	s_waitcnt vmcnt(0)
	v_readfirstlane_b32 s16, v0
	v_readfirstlane_b32 s17, v1
	s_and_b64 s[16:17], s[16:17], s[12:13]
	s_mul_i32 s17, s17, 24
	s_mul_hi_u32 s18, s16, 24
	s_mul_i32 s16, s16, 24
	s_add_i32 s17, s18, s17
	v_mov_b32_e32 v0, s17
	v_add_co_u32_e32 v6, vcc, s16, v22
	v_addc_co_u32_e32 v7, vcc, v23, v0, vcc
	global_store_dwordx2 v[6:7], v[12:13], off
	s_waitcnt vmcnt(0)
	global_atomic_cmpswap_x2 v[2:3], v26, v[10:13], s[2:3] offset:32 glc
	s_waitcnt vmcnt(0)
	v_cmp_ne_u64_e32 vcc, v[2:3], v[12:13]
	s_and_saveexec_b64 s[16:17], vcc
	s_cbranch_execz .LBB8_648
; %bb.646:                              ;   in Loop: Header=BB8_580 Depth=1
	s_mov_b64 s[18:19], 0
.LBB8_647:                              ;   Parent Loop BB8_580 Depth=1
                                        ; =>  This Inner Loop Header: Depth=2
	s_sleep 1
	global_store_dwordx2 v[6:7], v[2:3], off
	v_mov_b32_e32 v0, s12
	v_mov_b32_e32 v1, s13
	s_waitcnt vmcnt(0)
	global_atomic_cmpswap_x2 v[0:1], v26, v[0:3], s[2:3] offset:32 glc
	s_waitcnt vmcnt(0)
	v_cmp_eq_u64_e32 vcc, v[0:1], v[2:3]
	v_mov_b32_e32 v3, v1
	s_or_b64 s[18:19], vcc, s[18:19]
	v_mov_b32_e32 v2, v0
	s_andn2_b64 exec, exec, s[18:19]
	s_cbranch_execnz .LBB8_647
.LBB8_648:                              ;   in Loop: Header=BB8_580 Depth=1
	s_or_b64 exec, exec, s[16:17]
	global_load_dwordx2 v[0:1], v26, s[2:3] offset:16
	s_mov_b64 s[18:19], exec
	v_mbcnt_lo_u32_b32 v2, s18, 0
	v_mbcnt_hi_u32_b32 v2, s19, v2
	v_cmp_eq_u32_e32 vcc, 0, v2
	s_and_saveexec_b64 s[16:17], vcc
	s_cbranch_execz .LBB8_650
; %bb.649:                              ;   in Loop: Header=BB8_580 Depth=1
	s_bcnt1_i32_b64 s18, s[18:19]
	v_mov_b32_e32 v25, s18
	s_waitcnt vmcnt(0)
	global_atomic_add_x2 v[0:1], v[25:26], off offset:8
.LBB8_650:                              ;   in Loop: Header=BB8_580 Depth=1
	s_or_b64 exec, exec, s[16:17]
	s_waitcnt vmcnt(0)
	global_load_dwordx2 v[2:3], v[0:1], off offset:16
	s_waitcnt vmcnt(0)
	v_cmp_eq_u64_e32 vcc, 0, v[2:3]
	s_cbranch_vccnz .LBB8_652
; %bb.651:                              ;   in Loop: Header=BB8_580 Depth=1
	global_load_dword v25, v[0:1], off offset:24
	s_waitcnt vmcnt(0)
	v_readfirstlane_b32 s16, v25
	s_and_b32 m0, s16, 0xffffff
	global_store_dwordx2 v[2:3], v[25:26], off
	s_sendmsg sendmsg(MSG_INTERRUPT)
.LBB8_652:                              ;   in Loop: Header=BB8_580 Depth=1
	s_or_b64 exec, exec, s[14:15]
	v_add_co_u32_e32 v0, vcc, v24, v29
	v_addc_co_u32_e32 v1, vcc, 0, v32, vcc
	s_branch .LBB8_656
.LBB8_653:                              ;   in Loop: Header=BB8_656 Depth=2
	s_or_b64 exec, exec, s[14:15]
	v_readfirstlane_b32 s14, v2
	s_cmp_eq_u32 s14, 0
	s_cbranch_scc1 .LBB8_655
; %bb.654:                              ;   in Loop: Header=BB8_656 Depth=2
	s_sleep 1
	s_cbranch_execnz .LBB8_656
	s_branch .LBB8_658
.LBB8_655:                              ;   in Loop: Header=BB8_580 Depth=1
	s_branch .LBB8_658
.LBB8_656:                              ;   Parent Loop BB8_580 Depth=1
                                        ; =>  This Inner Loop Header: Depth=2
	v_mov_b32_e32 v2, 1
	s_and_saveexec_b64 s[14:15], s[0:1]
	s_cbranch_execz .LBB8_653
; %bb.657:                              ;   in Loop: Header=BB8_656 Depth=2
	global_load_dword v2, v[27:28], off offset:20 glc
	s_waitcnt vmcnt(0)
	buffer_wbinvl1_vol
	v_and_b32_e32 v2, 1, v2
	s_branch .LBB8_653
.LBB8_658:                              ;   in Loop: Header=BB8_580 Depth=1
	global_load_dwordx2 v[0:1], v[0:1], off
	s_and_saveexec_b64 s[14:15], s[0:1]
	s_cbranch_execz .LBB8_579
; %bb.659:                              ;   in Loop: Header=BB8_580 Depth=1
	global_load_dwordx2 v[2:3], v26, s[2:3] offset:40
	global_load_dwordx2 v[14:15], v26, s[2:3] offset:24 glc
	global_load_dwordx2 v[6:7], v26, s[2:3]
	s_waitcnt vmcnt(2)
	v_readfirstlane_b32 s16, v2
	v_readfirstlane_b32 s17, v3
	s_add_u32 s18, s16, 1
	s_addc_u32 s19, s17, 0
	s_add_u32 s0, s18, s12
	s_addc_u32 s1, s19, s13
	s_cmp_eq_u64 s[0:1], 0
	s_cselect_b32 s1, s19, s1
	s_cselect_b32 s0, s18, s0
	s_and_b64 s[12:13], s[0:1], s[16:17]
	s_mul_i32 s13, s13, 24
	s_mul_hi_u32 s16, s12, 24
	s_mul_i32 s12, s12, 24
	s_add_i32 s13, s16, s13
	v_mov_b32_e32 v3, s13
	s_waitcnt vmcnt(0)
	v_add_co_u32_e32 v2, vcc, s12, v6
	v_addc_co_u32_e32 v3, vcc, v7, v3, vcc
	v_mov_b32_e32 v12, s0
	global_store_dwordx2 v[2:3], v[14:15], off
	v_mov_b32_e32 v13, s1
	s_waitcnt vmcnt(0)
	global_atomic_cmpswap_x2 v[12:13], v26, v[12:15], s[2:3] offset:24 glc
	s_waitcnt vmcnt(0)
	v_cmp_ne_u64_e32 vcc, v[12:13], v[14:15]
	s_and_b64 exec, exec, vcc
	s_cbranch_execz .LBB8_579
; %bb.660:                              ;   in Loop: Header=BB8_580 Depth=1
	s_mov_b64 s[12:13], 0
.LBB8_661:                              ;   Parent Loop BB8_580 Depth=1
                                        ; =>  This Inner Loop Header: Depth=2
	s_sleep 1
	global_store_dwordx2 v[2:3], v[12:13], off
	v_mov_b32_e32 v10, s0
	v_mov_b32_e32 v11, s1
	s_waitcnt vmcnt(0)
	global_atomic_cmpswap_x2 v[6:7], v26, v[10:13], s[2:3] offset:24 glc
	s_waitcnt vmcnt(0)
	v_cmp_eq_u64_e32 vcc, v[6:7], v[12:13]
	v_mov_b32_e32 v13, v7
	s_or_b64 s[12:13], vcc, s[12:13]
	v_mov_b32_e32 v12, v6
	s_andn2_b64 exec, exec, s[12:13]
	s_cbranch_execnz .LBB8_661
	s_branch .LBB8_579
.LBB8_662:
.LBB8_663:
	s_and_b64 vcc, exec, s[6:7]
	s_cbranch_vccz .LBB8_776
.LBB8_664:
	s_waitcnt vmcnt(0)
	v_and_b32_e32 v31, 2, v0
	v_mov_b32_e32 v26, 0
	v_and_b32_e32 v2, -3, v0
	v_mov_b32_e32 v3, v1
	s_mov_b64 s[6:7], 52
	v_mov_b32_e32 v8, 2
	v_mov_b32_e32 v9, 1
	s_getpc_b64 s[4:5]
	s_add_u32 s4, s4, .str.10@rel32@lo+4
	s_addc_u32 s5, s5, .str.10@rel32@hi+12
	s_branch .LBB8_666
.LBB8_665:                              ;   in Loop: Header=BB8_666 Depth=1
	s_or_b64 exec, exec, s[12:13]
	s_sub_u32 s6, s6, s8
	s_subb_u32 s7, s7, s9
	s_add_u32 s4, s4, s8
	s_addc_u32 s5, s5, s9
	s_cmp_lg_u64 s[6:7], 0
	s_cbranch_scc0 .LBB8_748
.LBB8_666:                              ; =>This Loop Header: Depth=1
                                        ;     Child Loop BB8_669 Depth 2
                                        ;     Child Loop BB8_677 Depth 2
	;; [unrolled: 1-line block ×11, first 2 shown]
	v_cmp_lt_u64_e64 s[0:1], s[6:7], 56
	v_cmp_gt_u64_e64 s[10:11], s[6:7], 7
	s_and_b64 s[0:1], s[0:1], exec
	s_cselect_b32 s9, s7, 0
	s_cselect_b32 s8, s6, 56
	s_add_u32 s0, s4, 8
	s_addc_u32 s1, s5, 0
	s_and_b64 vcc, exec, s[10:11]
	s_cbranch_vccnz .LBB8_670
; %bb.667:                              ;   in Loop: Header=BB8_666 Depth=1
	s_cmp_eq_u64 s[6:7], 0
	s_cbranch_scc1 .LBB8_671
; %bb.668:                              ;   in Loop: Header=BB8_666 Depth=1
	v_mov_b32_e32 v4, 0
	s_lshl_b64 s[0:1], s[8:9], 3
	s_mov_b64 s[10:11], 0
	v_mov_b32_e32 v5, 0
	s_mov_b64 s[12:13], s[4:5]
.LBB8_669:                              ;   Parent Loop BB8_666 Depth=1
                                        ; =>  This Inner Loop Header: Depth=2
	global_load_ubyte v6, v26, s[12:13]
	s_waitcnt vmcnt(0)
	v_and_b32_e32 v25, 0xffff, v6
	v_lshlrev_b64 v[6:7], s10, v[25:26]
	s_add_u32 s10, s10, 8
	s_addc_u32 s11, s11, 0
	s_add_u32 s12, s12, 1
	s_addc_u32 s13, s13, 0
	v_or_b32_e32 v4, v6, v4
	s_cmp_lg_u32 s0, s10
	v_or_b32_e32 v5, v7, v5
	s_cbranch_scc1 .LBB8_669
	s_branch .LBB8_672
.LBB8_670:                              ;   in Loop: Header=BB8_666 Depth=1
	s_mov_b32 s14, 0
	s_branch .LBB8_673
.LBB8_671:                              ;   in Loop: Header=BB8_666 Depth=1
	v_mov_b32_e32 v4, 0
	v_mov_b32_e32 v5, 0
.LBB8_672:                              ;   in Loop: Header=BB8_666 Depth=1
	s_mov_b64 s[0:1], s[4:5]
	s_mov_b32 s14, 0
	s_cbranch_execnz .LBB8_674
.LBB8_673:                              ;   in Loop: Header=BB8_666 Depth=1
	global_load_dwordx2 v[4:5], v26, s[4:5]
	s_add_i32 s14, s8, -8
.LBB8_674:                              ;   in Loop: Header=BB8_666 Depth=1
	s_add_u32 s10, s0, 8
	s_addc_u32 s11, s1, 0
	s_cmp_gt_u32 s14, 7
	s_cbranch_scc1 .LBB8_678
; %bb.675:                              ;   in Loop: Header=BB8_666 Depth=1
	s_cmp_eq_u32 s14, 0
	s_cbranch_scc1 .LBB8_679
; %bb.676:                              ;   in Loop: Header=BB8_666 Depth=1
	v_mov_b32_e32 v10, 0
	s_mov_b64 s[10:11], 0
	v_mov_b32_e32 v11, 0
	s_mov_b64 s[12:13], 0
.LBB8_677:                              ;   Parent Loop BB8_666 Depth=1
                                        ; =>  This Inner Loop Header: Depth=2
	s_add_u32 s16, s0, s12
	s_addc_u32 s17, s1, s13
	global_load_ubyte v6, v26, s[16:17]
	s_add_u32 s12, s12, 1
	s_addc_u32 s13, s13, 0
	s_waitcnt vmcnt(0)
	v_and_b32_e32 v25, 0xffff, v6
	v_lshlrev_b64 v[6:7], s10, v[25:26]
	s_add_u32 s10, s10, 8
	s_addc_u32 s11, s11, 0
	v_or_b32_e32 v10, v6, v10
	s_cmp_lg_u32 s14, s12
	v_or_b32_e32 v11, v7, v11
	s_cbranch_scc1 .LBB8_677
	s_branch .LBB8_680
.LBB8_678:                              ;   in Loop: Header=BB8_666 Depth=1
                                        ; implicit-def: $vgpr10_vgpr11
	s_mov_b32 s15, 0
	s_branch .LBB8_681
.LBB8_679:                              ;   in Loop: Header=BB8_666 Depth=1
	v_mov_b32_e32 v10, 0
	v_mov_b32_e32 v11, 0
.LBB8_680:                              ;   in Loop: Header=BB8_666 Depth=1
	s_mov_b64 s[10:11], s[0:1]
	s_mov_b32 s15, 0
	s_cbranch_execnz .LBB8_682
.LBB8_681:                              ;   in Loop: Header=BB8_666 Depth=1
	global_load_dwordx2 v[10:11], v26, s[0:1]
	s_add_i32 s15, s14, -8
.LBB8_682:                              ;   in Loop: Header=BB8_666 Depth=1
	s_add_u32 s0, s10, 8
	s_addc_u32 s1, s11, 0
	s_cmp_gt_u32 s15, 7
	s_cbranch_scc1 .LBB8_686
; %bb.683:                              ;   in Loop: Header=BB8_666 Depth=1
	s_cmp_eq_u32 s15, 0
	s_cbranch_scc1 .LBB8_687
; %bb.684:                              ;   in Loop: Header=BB8_666 Depth=1
	v_mov_b32_e32 v12, 0
	s_mov_b64 s[0:1], 0
	v_mov_b32_e32 v13, 0
	s_mov_b64 s[12:13], 0
.LBB8_685:                              ;   Parent Loop BB8_666 Depth=1
                                        ; =>  This Inner Loop Header: Depth=2
	s_add_u32 s16, s10, s12
	s_addc_u32 s17, s11, s13
	global_load_ubyte v6, v26, s[16:17]
	s_add_u32 s12, s12, 1
	s_addc_u32 s13, s13, 0
	s_waitcnt vmcnt(0)
	v_and_b32_e32 v25, 0xffff, v6
	v_lshlrev_b64 v[6:7], s0, v[25:26]
	s_add_u32 s0, s0, 8
	s_addc_u32 s1, s1, 0
	v_or_b32_e32 v12, v6, v12
	s_cmp_lg_u32 s15, s12
	v_or_b32_e32 v13, v7, v13
	s_cbranch_scc1 .LBB8_685
	s_branch .LBB8_688
.LBB8_686:                              ;   in Loop: Header=BB8_666 Depth=1
	s_mov_b32 s14, 0
	s_branch .LBB8_689
.LBB8_687:                              ;   in Loop: Header=BB8_666 Depth=1
	v_mov_b32_e32 v12, 0
	v_mov_b32_e32 v13, 0
.LBB8_688:                              ;   in Loop: Header=BB8_666 Depth=1
	s_mov_b64 s[0:1], s[10:11]
	s_mov_b32 s14, 0
	s_cbranch_execnz .LBB8_690
.LBB8_689:                              ;   in Loop: Header=BB8_666 Depth=1
	global_load_dwordx2 v[12:13], v26, s[10:11]
	s_add_i32 s14, s15, -8
.LBB8_690:                              ;   in Loop: Header=BB8_666 Depth=1
	s_add_u32 s10, s0, 8
	s_addc_u32 s11, s1, 0
	s_cmp_gt_u32 s14, 7
	s_cbranch_scc1 .LBB8_694
; %bb.691:                              ;   in Loop: Header=BB8_666 Depth=1
	s_cmp_eq_u32 s14, 0
	s_cbranch_scc1 .LBB8_695
; %bb.692:                              ;   in Loop: Header=BB8_666 Depth=1
	v_mov_b32_e32 v14, 0
	s_mov_b64 s[10:11], 0
	v_mov_b32_e32 v15, 0
	s_mov_b64 s[12:13], 0
.LBB8_693:                              ;   Parent Loop BB8_666 Depth=1
                                        ; =>  This Inner Loop Header: Depth=2
	s_add_u32 s16, s0, s12
	s_addc_u32 s17, s1, s13
	global_load_ubyte v6, v26, s[16:17]
	s_add_u32 s12, s12, 1
	s_addc_u32 s13, s13, 0
	s_waitcnt vmcnt(0)
	v_and_b32_e32 v25, 0xffff, v6
	v_lshlrev_b64 v[6:7], s10, v[25:26]
	s_add_u32 s10, s10, 8
	s_addc_u32 s11, s11, 0
	v_or_b32_e32 v14, v6, v14
	s_cmp_lg_u32 s14, s12
	v_or_b32_e32 v15, v7, v15
	s_cbranch_scc1 .LBB8_693
	s_branch .LBB8_696
.LBB8_694:                              ;   in Loop: Header=BB8_666 Depth=1
                                        ; implicit-def: $vgpr14_vgpr15
	s_mov_b32 s15, 0
	s_branch .LBB8_697
.LBB8_695:                              ;   in Loop: Header=BB8_666 Depth=1
	v_mov_b32_e32 v14, 0
	v_mov_b32_e32 v15, 0
.LBB8_696:                              ;   in Loop: Header=BB8_666 Depth=1
	s_mov_b64 s[10:11], s[0:1]
	s_mov_b32 s15, 0
	s_cbranch_execnz .LBB8_698
.LBB8_697:                              ;   in Loop: Header=BB8_666 Depth=1
	global_load_dwordx2 v[14:15], v26, s[0:1]
	s_add_i32 s15, s14, -8
.LBB8_698:                              ;   in Loop: Header=BB8_666 Depth=1
	s_add_u32 s0, s10, 8
	s_addc_u32 s1, s11, 0
	s_cmp_gt_u32 s15, 7
	s_cbranch_scc1 .LBB8_702
; %bb.699:                              ;   in Loop: Header=BB8_666 Depth=1
	s_cmp_eq_u32 s15, 0
	s_cbranch_scc1 .LBB8_703
; %bb.700:                              ;   in Loop: Header=BB8_666 Depth=1
	v_mov_b32_e32 v16, 0
	s_mov_b64 s[0:1], 0
	v_mov_b32_e32 v17, 0
	s_mov_b64 s[12:13], 0
.LBB8_701:                              ;   Parent Loop BB8_666 Depth=1
                                        ; =>  This Inner Loop Header: Depth=2
	s_add_u32 s16, s10, s12
	s_addc_u32 s17, s11, s13
	global_load_ubyte v6, v26, s[16:17]
	s_add_u32 s12, s12, 1
	s_addc_u32 s13, s13, 0
	s_waitcnt vmcnt(0)
	v_and_b32_e32 v25, 0xffff, v6
	v_lshlrev_b64 v[6:7], s0, v[25:26]
	s_add_u32 s0, s0, 8
	s_addc_u32 s1, s1, 0
	v_or_b32_e32 v16, v6, v16
	s_cmp_lg_u32 s15, s12
	v_or_b32_e32 v17, v7, v17
	s_cbranch_scc1 .LBB8_701
	s_branch .LBB8_704
.LBB8_702:                              ;   in Loop: Header=BB8_666 Depth=1
	s_mov_b32 s14, 0
	s_branch .LBB8_705
.LBB8_703:                              ;   in Loop: Header=BB8_666 Depth=1
	v_mov_b32_e32 v16, 0
	v_mov_b32_e32 v17, 0
.LBB8_704:                              ;   in Loop: Header=BB8_666 Depth=1
	s_mov_b64 s[0:1], s[10:11]
	s_mov_b32 s14, 0
	s_cbranch_execnz .LBB8_706
.LBB8_705:                              ;   in Loop: Header=BB8_666 Depth=1
	global_load_dwordx2 v[16:17], v26, s[10:11]
	s_add_i32 s14, s15, -8
.LBB8_706:                              ;   in Loop: Header=BB8_666 Depth=1
	s_add_u32 s10, s0, 8
	s_addc_u32 s11, s1, 0
	s_cmp_gt_u32 s14, 7
	s_cbranch_scc1 .LBB8_710
; %bb.707:                              ;   in Loop: Header=BB8_666 Depth=1
	s_cmp_eq_u32 s14, 0
	s_cbranch_scc1 .LBB8_711
; %bb.708:                              ;   in Loop: Header=BB8_666 Depth=1
	v_mov_b32_e32 v18, 0
	s_mov_b64 s[10:11], 0
	v_mov_b32_e32 v19, 0
	s_mov_b64 s[12:13], 0
.LBB8_709:                              ;   Parent Loop BB8_666 Depth=1
                                        ; =>  This Inner Loop Header: Depth=2
	s_add_u32 s16, s0, s12
	s_addc_u32 s17, s1, s13
	global_load_ubyte v6, v26, s[16:17]
	s_add_u32 s12, s12, 1
	s_addc_u32 s13, s13, 0
	s_waitcnt vmcnt(0)
	v_and_b32_e32 v25, 0xffff, v6
	v_lshlrev_b64 v[6:7], s10, v[25:26]
	s_add_u32 s10, s10, 8
	s_addc_u32 s11, s11, 0
	v_or_b32_e32 v18, v6, v18
	s_cmp_lg_u32 s14, s12
	v_or_b32_e32 v19, v7, v19
	s_cbranch_scc1 .LBB8_709
	s_branch .LBB8_712
.LBB8_710:                              ;   in Loop: Header=BB8_666 Depth=1
                                        ; implicit-def: $vgpr18_vgpr19
	s_mov_b32 s15, 0
	s_branch .LBB8_713
.LBB8_711:                              ;   in Loop: Header=BB8_666 Depth=1
	v_mov_b32_e32 v18, 0
	v_mov_b32_e32 v19, 0
.LBB8_712:                              ;   in Loop: Header=BB8_666 Depth=1
	s_mov_b64 s[10:11], s[0:1]
	s_mov_b32 s15, 0
	s_cbranch_execnz .LBB8_714
.LBB8_713:                              ;   in Loop: Header=BB8_666 Depth=1
	global_load_dwordx2 v[18:19], v26, s[0:1]
	s_add_i32 s15, s14, -8
.LBB8_714:                              ;   in Loop: Header=BB8_666 Depth=1
	s_cmp_gt_u32 s15, 7
	s_cbranch_scc1 .LBB8_718
; %bb.715:                              ;   in Loop: Header=BB8_666 Depth=1
	s_cmp_eq_u32 s15, 0
	s_cbranch_scc1 .LBB8_719
; %bb.716:                              ;   in Loop: Header=BB8_666 Depth=1
	v_mov_b32_e32 v20, 0
	s_mov_b64 s[0:1], 0
	v_mov_b32_e32 v21, 0
	s_mov_b64 s[12:13], s[10:11]
.LBB8_717:                              ;   Parent Loop BB8_666 Depth=1
                                        ; =>  This Inner Loop Header: Depth=2
	global_load_ubyte v6, v26, s[12:13]
	s_add_i32 s15, s15, -1
	s_waitcnt vmcnt(0)
	v_and_b32_e32 v25, 0xffff, v6
	v_lshlrev_b64 v[6:7], s0, v[25:26]
	s_add_u32 s0, s0, 8
	s_addc_u32 s1, s1, 0
	s_add_u32 s12, s12, 1
	s_addc_u32 s13, s13, 0
	v_or_b32_e32 v20, v6, v20
	s_cmp_lg_u32 s15, 0
	v_or_b32_e32 v21, v7, v21
	s_cbranch_scc1 .LBB8_717
	s_branch .LBB8_720
.LBB8_718:                              ;   in Loop: Header=BB8_666 Depth=1
	s_branch .LBB8_721
.LBB8_719:                              ;   in Loop: Header=BB8_666 Depth=1
	v_mov_b32_e32 v20, 0
	v_mov_b32_e32 v21, 0
.LBB8_720:                              ;   in Loop: Header=BB8_666 Depth=1
	s_cbranch_execnz .LBB8_722
.LBB8_721:                              ;   in Loop: Header=BB8_666 Depth=1
	global_load_dwordx2 v[20:21], v26, s[10:11]
.LBB8_722:                              ;   in Loop: Header=BB8_666 Depth=1
	v_readfirstlane_b32 s0, v30
	v_mov_b32_e32 v6, 0
	v_mov_b32_e32 v7, 0
	v_cmp_eq_u32_e64 s[0:1], s0, v30
	s_and_saveexec_b64 s[10:11], s[0:1]
	s_cbranch_execz .LBB8_728
; %bb.723:                              ;   in Loop: Header=BB8_666 Depth=1
	global_load_dwordx2 v[24:25], v26, s[2:3] offset:24 glc
	s_waitcnt vmcnt(0)
	buffer_wbinvl1_vol
	global_load_dwordx2 v[6:7], v26, s[2:3] offset:40
	global_load_dwordx2 v[22:23], v26, s[2:3]
	s_waitcnt vmcnt(1)
	v_and_b32_e32 v6, v6, v24
	v_and_b32_e32 v7, v7, v25
	v_mul_lo_u32 v7, v7, 24
	v_mul_hi_u32 v27, v6, 24
	v_mul_lo_u32 v6, v6, 24
	v_add_u32_e32 v7, v27, v7
	s_waitcnt vmcnt(0)
	v_add_co_u32_e32 v6, vcc, v22, v6
	v_addc_co_u32_e32 v7, vcc, v23, v7, vcc
	global_load_dwordx2 v[22:23], v[6:7], off glc
	s_waitcnt vmcnt(0)
	global_atomic_cmpswap_x2 v[6:7], v26, v[22:25], s[2:3] offset:24 glc
	s_waitcnt vmcnt(0)
	buffer_wbinvl1_vol
	v_cmp_ne_u64_e32 vcc, v[6:7], v[24:25]
	s_and_saveexec_b64 s[12:13], vcc
	s_cbranch_execz .LBB8_727
; %bb.724:                              ;   in Loop: Header=BB8_666 Depth=1
	s_mov_b64 s[14:15], 0
.LBB8_725:                              ;   Parent Loop BB8_666 Depth=1
                                        ; =>  This Inner Loop Header: Depth=2
	s_sleep 1
	global_load_dwordx2 v[22:23], v26, s[2:3] offset:40
	global_load_dwordx2 v[27:28], v26, s[2:3]
	v_mov_b32_e32 v25, v7
	v_mov_b32_e32 v24, v6
	s_waitcnt vmcnt(1)
	v_and_b32_e32 v6, v22, v24
	s_waitcnt vmcnt(0)
	v_mad_u64_u32 v[6:7], s[16:17], v6, 24, v[27:28]
	v_and_b32_e32 v22, v23, v25
	v_mad_u64_u32 v[22:23], s[16:17], v22, 24, v[7:8]
	v_mov_b32_e32 v7, v22
	global_load_dwordx2 v[22:23], v[6:7], off glc
	s_waitcnt vmcnt(0)
	global_atomic_cmpswap_x2 v[6:7], v26, v[22:25], s[2:3] offset:24 glc
	s_waitcnt vmcnt(0)
	buffer_wbinvl1_vol
	v_cmp_eq_u64_e32 vcc, v[6:7], v[24:25]
	s_or_b64 s[14:15], vcc, s[14:15]
	s_andn2_b64 exec, exec, s[14:15]
	s_cbranch_execnz .LBB8_725
; %bb.726:                              ;   in Loop: Header=BB8_666 Depth=1
	s_or_b64 exec, exec, s[14:15]
.LBB8_727:                              ;   in Loop: Header=BB8_666 Depth=1
	s_or_b64 exec, exec, s[12:13]
.LBB8_728:                              ;   in Loop: Header=BB8_666 Depth=1
	s_or_b64 exec, exec, s[10:11]
	global_load_dwordx2 v[27:28], v26, s[2:3] offset:40
	global_load_dwordx4 v[22:25], v26, s[2:3]
	v_readfirstlane_b32 s11, v7
	v_readfirstlane_b32 s10, v6
	s_mov_b64 s[12:13], exec
	s_waitcnt vmcnt(1)
	v_readfirstlane_b32 s14, v27
	v_readfirstlane_b32 s15, v28
	s_and_b64 s[14:15], s[14:15], s[10:11]
	s_mul_i32 s16, s15, 24
	s_mul_hi_u32 s17, s14, 24
	s_mul_i32 s18, s14, 24
	s_add_i32 s16, s17, s16
	v_mov_b32_e32 v6, s16
	s_waitcnt vmcnt(0)
	v_add_co_u32_e32 v27, vcc, s18, v22
	v_addc_co_u32_e32 v28, vcc, v23, v6, vcc
	s_and_saveexec_b64 s[16:17], s[0:1]
	s_cbranch_execz .LBB8_730
; %bb.729:                              ;   in Loop: Header=BB8_666 Depth=1
	v_mov_b32_e32 v6, s12
	v_mov_b32_e32 v7, s13
	global_store_dwordx4 v[27:28], v[6:9], off offset:8
.LBB8_730:                              ;   in Loop: Header=BB8_666 Depth=1
	s_or_b64 exec, exec, s[16:17]
	s_lshl_b64 s[12:13], s[14:15], 12
	v_mov_b32_e32 v6, s13
	v_add_co_u32_e32 v24, vcc, s12, v24
	v_addc_co_u32_e32 v32, vcc, v25, v6, vcc
	v_cmp_lt_u64_e64 vcc, s[6:7], 57
	s_lshl_b32 s12, s8, 2
	v_cndmask_b32_e32 v6, 0, v31, vcc
	s_add_i32 s12, s12, 28
	v_and_b32_e32 v2, 0xffffff1f, v2
	s_and_b32 s12, s12, 0x1e0
	v_or_b32_e32 v2, v2, v6
	v_or_b32_e32 v2, s12, v2
	v_readfirstlane_b32 s12, v24
	v_readfirstlane_b32 s13, v32
	s_nop 4
	global_store_dwordx4 v29, v[2:5], s[12:13]
	global_store_dwordx4 v29, v[10:13], s[12:13] offset:16
	global_store_dwordx4 v29, v[14:17], s[12:13] offset:32
	;; [unrolled: 1-line block ×3, first 2 shown]
	s_and_saveexec_b64 s[12:13], s[0:1]
	s_cbranch_execz .LBB8_738
; %bb.731:                              ;   in Loop: Header=BB8_666 Depth=1
	global_load_dwordx2 v[12:13], v26, s[2:3] offset:32 glc
	global_load_dwordx2 v[2:3], v26, s[2:3] offset:40
	v_mov_b32_e32 v10, s10
	v_mov_b32_e32 v11, s11
	s_waitcnt vmcnt(0)
	v_readfirstlane_b32 s14, v2
	v_readfirstlane_b32 s15, v3
	s_and_b64 s[14:15], s[14:15], s[10:11]
	s_mul_i32 s15, s15, 24
	s_mul_hi_u32 s16, s14, 24
	s_mul_i32 s14, s14, 24
	s_add_i32 s15, s16, s15
	v_mov_b32_e32 v2, s15
	v_add_co_u32_e32 v6, vcc, s14, v22
	v_addc_co_u32_e32 v7, vcc, v23, v2, vcc
	global_store_dwordx2 v[6:7], v[12:13], off
	s_waitcnt vmcnt(0)
	global_atomic_cmpswap_x2 v[4:5], v26, v[10:13], s[2:3] offset:32 glc
	s_waitcnt vmcnt(0)
	v_cmp_ne_u64_e32 vcc, v[4:5], v[12:13]
	s_and_saveexec_b64 s[14:15], vcc
	s_cbranch_execz .LBB8_734
; %bb.732:                              ;   in Loop: Header=BB8_666 Depth=1
	s_mov_b64 s[16:17], 0
.LBB8_733:                              ;   Parent Loop BB8_666 Depth=1
                                        ; =>  This Inner Loop Header: Depth=2
	s_sleep 1
	global_store_dwordx2 v[6:7], v[4:5], off
	v_mov_b32_e32 v2, s10
	v_mov_b32_e32 v3, s11
	s_waitcnt vmcnt(0)
	global_atomic_cmpswap_x2 v[2:3], v26, v[2:5], s[2:3] offset:32 glc
	s_waitcnt vmcnt(0)
	v_cmp_eq_u64_e32 vcc, v[2:3], v[4:5]
	v_mov_b32_e32 v5, v3
	s_or_b64 s[16:17], vcc, s[16:17]
	v_mov_b32_e32 v4, v2
	s_andn2_b64 exec, exec, s[16:17]
	s_cbranch_execnz .LBB8_733
.LBB8_734:                              ;   in Loop: Header=BB8_666 Depth=1
	s_or_b64 exec, exec, s[14:15]
	global_load_dwordx2 v[2:3], v26, s[2:3] offset:16
	s_mov_b64 s[16:17], exec
	v_mbcnt_lo_u32_b32 v4, s16, 0
	v_mbcnt_hi_u32_b32 v4, s17, v4
	v_cmp_eq_u32_e32 vcc, 0, v4
	s_and_saveexec_b64 s[14:15], vcc
	s_cbranch_execz .LBB8_736
; %bb.735:                              ;   in Loop: Header=BB8_666 Depth=1
	s_bcnt1_i32_b64 s16, s[16:17]
	v_mov_b32_e32 v25, s16
	s_waitcnt vmcnt(0)
	global_atomic_add_x2 v[2:3], v[25:26], off offset:8
.LBB8_736:                              ;   in Loop: Header=BB8_666 Depth=1
	s_or_b64 exec, exec, s[14:15]
	s_waitcnt vmcnt(0)
	global_load_dwordx2 v[4:5], v[2:3], off offset:16
	s_waitcnt vmcnt(0)
	v_cmp_eq_u64_e32 vcc, 0, v[4:5]
	s_cbranch_vccnz .LBB8_738
; %bb.737:                              ;   in Loop: Header=BB8_666 Depth=1
	global_load_dword v25, v[2:3], off offset:24
	s_waitcnt vmcnt(0)
	v_readfirstlane_b32 s14, v25
	s_and_b32 m0, s14, 0xffffff
	global_store_dwordx2 v[4:5], v[25:26], off
	s_sendmsg sendmsg(MSG_INTERRUPT)
.LBB8_738:                              ;   in Loop: Header=BB8_666 Depth=1
	s_or_b64 exec, exec, s[12:13]
	v_add_co_u32_e32 v2, vcc, v24, v29
	v_addc_co_u32_e32 v3, vcc, 0, v32, vcc
	s_branch .LBB8_742
.LBB8_739:                              ;   in Loop: Header=BB8_742 Depth=2
	s_or_b64 exec, exec, s[12:13]
	v_readfirstlane_b32 s12, v4
	s_cmp_eq_u32 s12, 0
	s_cbranch_scc1 .LBB8_741
; %bb.740:                              ;   in Loop: Header=BB8_742 Depth=2
	s_sleep 1
	s_cbranch_execnz .LBB8_742
	s_branch .LBB8_744
.LBB8_741:                              ;   in Loop: Header=BB8_666 Depth=1
	s_branch .LBB8_744
.LBB8_742:                              ;   Parent Loop BB8_666 Depth=1
                                        ; =>  This Inner Loop Header: Depth=2
	v_mov_b32_e32 v4, 1
	s_and_saveexec_b64 s[12:13], s[0:1]
	s_cbranch_execz .LBB8_739
; %bb.743:                              ;   in Loop: Header=BB8_742 Depth=2
	global_load_dword v4, v[27:28], off offset:20 glc
	s_waitcnt vmcnt(0)
	buffer_wbinvl1_vol
	v_and_b32_e32 v4, 1, v4
	s_branch .LBB8_739
.LBB8_744:                              ;   in Loop: Header=BB8_666 Depth=1
	global_load_dwordx2 v[2:3], v[2:3], off
	s_and_saveexec_b64 s[12:13], s[0:1]
	s_cbranch_execz .LBB8_665
; %bb.745:                              ;   in Loop: Header=BB8_666 Depth=1
	global_load_dwordx2 v[4:5], v26, s[2:3] offset:40
	global_load_dwordx2 v[14:15], v26, s[2:3] offset:24 glc
	global_load_dwordx2 v[6:7], v26, s[2:3]
	s_waitcnt vmcnt(2)
	v_readfirstlane_b32 s14, v4
	v_readfirstlane_b32 s15, v5
	s_add_u32 s16, s14, 1
	s_addc_u32 s17, s15, 0
	s_add_u32 s0, s16, s10
	s_addc_u32 s1, s17, s11
	s_cmp_eq_u64 s[0:1], 0
	s_cselect_b32 s1, s17, s1
	s_cselect_b32 s0, s16, s0
	s_and_b64 s[10:11], s[0:1], s[14:15]
	s_mul_i32 s11, s11, 24
	s_mul_hi_u32 s14, s10, 24
	s_mul_i32 s10, s10, 24
	s_add_i32 s11, s14, s11
	v_mov_b32_e32 v4, s11
	s_waitcnt vmcnt(0)
	v_add_co_u32_e32 v10, vcc, s10, v6
	v_addc_co_u32_e32 v11, vcc, v7, v4, vcc
	v_mov_b32_e32 v12, s0
	global_store_dwordx2 v[10:11], v[14:15], off
	v_mov_b32_e32 v13, s1
	s_waitcnt vmcnt(0)
	global_atomic_cmpswap_x2 v[6:7], v26, v[12:15], s[2:3] offset:24 glc
	s_waitcnt vmcnt(0)
	v_cmp_ne_u64_e32 vcc, v[6:7], v[14:15]
	s_and_b64 exec, exec, vcc
	s_cbranch_execz .LBB8_665
; %bb.746:                              ;   in Loop: Header=BB8_666 Depth=1
	s_mov_b64 s[10:11], 0
.LBB8_747:                              ;   Parent Loop BB8_666 Depth=1
                                        ; =>  This Inner Loop Header: Depth=2
	s_sleep 1
	global_store_dwordx2 v[10:11], v[6:7], off
	v_mov_b32_e32 v4, s0
	v_mov_b32_e32 v5, s1
	s_waitcnt vmcnt(0)
	global_atomic_cmpswap_x2 v[4:5], v26, v[4:7], s[2:3] offset:24 glc
	s_waitcnt vmcnt(0)
	v_cmp_eq_u64_e32 vcc, v[4:5], v[6:7]
	v_mov_b32_e32 v7, v5
	s_or_b64 s[10:11], vcc, s[10:11]
	v_mov_b32_e32 v6, v4
	s_andn2_b64 exec, exec, s[10:11]
	s_cbranch_execnz .LBB8_747
	s_branch .LBB8_665
.LBB8_748:
	s_branch .LBB8_803
.LBB8_749:
                                        ; implicit-def: $vgpr0_vgpr1
	s_cbranch_execz .LBB8_663
; %bb.750:
	v_readfirstlane_b32 s0, v30
	v_mov_b32_e32 v7, 0
	v_mov_b32_e32 v8, 0
	v_cmp_eq_u32_e64 s[0:1], s0, v30
	s_and_saveexec_b64 s[4:5], s[0:1]
	s_cbranch_execz .LBB8_756
; %bb.751:
	s_waitcnt vmcnt(0)
	v_mov_b32_e32 v0, 0
	global_load_dwordx2 v[9:10], v0, s[2:3] offset:24 glc
	s_waitcnt vmcnt(0)
	buffer_wbinvl1_vol
	global_load_dwordx2 v[1:2], v0, s[2:3] offset:40
	global_load_dwordx2 v[6:7], v0, s[2:3]
	s_waitcnt vmcnt(1)
	v_and_b32_e32 v1, v1, v9
	v_and_b32_e32 v2, v2, v10
	v_mul_lo_u32 v2, v2, 24
	v_mul_hi_u32 v3, v1, 24
	v_mul_lo_u32 v1, v1, 24
	v_add_u32_e32 v2, v3, v2
	s_waitcnt vmcnt(0)
	v_add_co_u32_e32 v1, vcc, v6, v1
	v_addc_co_u32_e32 v2, vcc, v7, v2, vcc
	global_load_dwordx2 v[7:8], v[1:2], off glc
	s_waitcnt vmcnt(0)
	global_atomic_cmpswap_x2 v[7:8], v0, v[7:10], s[2:3] offset:24 glc
	s_waitcnt vmcnt(0)
	buffer_wbinvl1_vol
	v_cmp_ne_u64_e32 vcc, v[7:8], v[9:10]
	s_and_saveexec_b64 s[8:9], vcc
	s_cbranch_execz .LBB8_755
; %bb.752:
	s_mov_b64 s[10:11], 0
.LBB8_753:                              ; =>This Inner Loop Header: Depth=1
	s_sleep 1
	global_load_dwordx2 v[1:2], v0, s[2:3] offset:40
	global_load_dwordx2 v[11:12], v0, s[2:3]
	v_mov_b32_e32 v10, v8
	v_mov_b32_e32 v9, v7
	s_waitcnt vmcnt(1)
	v_and_b32_e32 v1, v1, v9
	s_waitcnt vmcnt(0)
	v_mad_u64_u32 v[6:7], s[12:13], v1, 24, v[11:12]
	v_and_b32_e32 v2, v2, v10
	v_mov_b32_e32 v1, v7
	v_mad_u64_u32 v[1:2], s[12:13], v2, 24, v[1:2]
	v_mov_b32_e32 v7, v1
	global_load_dwordx2 v[7:8], v[6:7], off glc
	s_waitcnt vmcnt(0)
	global_atomic_cmpswap_x2 v[7:8], v0, v[7:10], s[2:3] offset:24 glc
	s_waitcnt vmcnt(0)
	buffer_wbinvl1_vol
	v_cmp_eq_u64_e32 vcc, v[7:8], v[9:10]
	s_or_b64 s[10:11], vcc, s[10:11]
	s_andn2_b64 exec, exec, s[10:11]
	s_cbranch_execnz .LBB8_753
; %bb.754:
	s_or_b64 exec, exec, s[10:11]
.LBB8_755:
	s_or_b64 exec, exec, s[8:9]
.LBB8_756:
	s_or_b64 exec, exec, s[4:5]
	v_mov_b32_e32 v6, 0
	global_load_dwordx2 v[9:10], v6, s[2:3] offset:40
	global_load_dwordx4 v[0:3], v6, s[2:3]
	v_readfirstlane_b32 s5, v8
	v_readfirstlane_b32 s4, v7
	s_mov_b64 s[8:9], exec
	s_waitcnt vmcnt(1)
	v_readfirstlane_b32 s10, v9
	v_readfirstlane_b32 s11, v10
	s_and_b64 s[10:11], s[10:11], s[4:5]
	s_mul_i32 s12, s11, 24
	s_mul_hi_u32 s13, s10, 24
	s_mul_i32 s14, s10, 24
	s_add_i32 s12, s13, s12
	v_mov_b32_e32 v7, s12
	s_waitcnt vmcnt(0)
	v_add_co_u32_e32 v8, vcc, s14, v0
	v_addc_co_u32_e32 v9, vcc, v1, v7, vcc
	s_and_saveexec_b64 s[12:13], s[0:1]
	s_cbranch_execz .LBB8_758
; %bb.757:
	v_mov_b32_e32 v11, s9
	v_mov_b32_e32 v10, s8
	;; [unrolled: 1-line block ×4, first 2 shown]
	global_store_dwordx4 v[8:9], v[10:13], off offset:8
.LBB8_758:
	s_or_b64 exec, exec, s[12:13]
	s_lshl_b64 s[8:9], s[10:11], 12
	v_mov_b32_e32 v7, s9
	v_add_co_u32_e32 v2, vcc, s8, v2
	v_addc_co_u32_e32 v3, vcc, v3, v7, vcc
	s_movk_i32 s8, 0xff1f
	v_and_or_b32 v4, v4, s8, 32
	v_add_co_u32_e32 v10, vcc, v2, v29
	s_mov_b32 s8, 0
	v_mov_b32_e32 v7, v6
	v_readfirstlane_b32 s12, v2
	v_readfirstlane_b32 s13, v3
	v_addc_co_u32_e32 v11, vcc, 0, v3, vcc
	s_mov_b32 s9, s8
	s_mov_b32 s10, s8
	;; [unrolled: 1-line block ×3, first 2 shown]
	s_nop 0
	global_store_dwordx4 v29, v[4:7], s[12:13]
	v_mov_b32_e32 v2, s8
	v_mov_b32_e32 v3, s9
	;; [unrolled: 1-line block ×4, first 2 shown]
	global_store_dwordx4 v29, v[2:5], s[12:13] offset:16
	global_store_dwordx4 v29, v[2:5], s[12:13] offset:32
	;; [unrolled: 1-line block ×3, first 2 shown]
	s_and_saveexec_b64 s[8:9], s[0:1]
	s_cbranch_execz .LBB8_766
; %bb.759:
	v_mov_b32_e32 v6, 0
	global_load_dwordx2 v[14:15], v6, s[2:3] offset:32 glc
	global_load_dwordx2 v[2:3], v6, s[2:3] offset:40
	v_mov_b32_e32 v12, s4
	v_mov_b32_e32 v13, s5
	s_waitcnt vmcnt(0)
	v_readfirstlane_b32 s10, v2
	v_readfirstlane_b32 s11, v3
	s_and_b64 s[10:11], s[10:11], s[4:5]
	s_mul_i32 s11, s11, 24
	s_mul_hi_u32 s12, s10, 24
	s_mul_i32 s10, s10, 24
	s_add_i32 s11, s12, s11
	v_mov_b32_e32 v2, s11
	v_add_co_u32_e32 v4, vcc, s10, v0
	v_addc_co_u32_e32 v5, vcc, v1, v2, vcc
	global_store_dwordx2 v[4:5], v[14:15], off
	s_waitcnt vmcnt(0)
	global_atomic_cmpswap_x2 v[2:3], v6, v[12:15], s[2:3] offset:32 glc
	s_waitcnt vmcnt(0)
	v_cmp_ne_u64_e32 vcc, v[2:3], v[14:15]
	s_and_saveexec_b64 s[10:11], vcc
	s_cbranch_execz .LBB8_762
; %bb.760:
	s_mov_b64 s[12:13], 0
.LBB8_761:                              ; =>This Inner Loop Header: Depth=1
	s_sleep 1
	global_store_dwordx2 v[4:5], v[2:3], off
	v_mov_b32_e32 v0, s4
	v_mov_b32_e32 v1, s5
	s_waitcnt vmcnt(0)
	global_atomic_cmpswap_x2 v[0:1], v6, v[0:3], s[2:3] offset:32 glc
	s_waitcnt vmcnt(0)
	v_cmp_eq_u64_e32 vcc, v[0:1], v[2:3]
	v_mov_b32_e32 v3, v1
	s_or_b64 s[12:13], vcc, s[12:13]
	v_mov_b32_e32 v2, v0
	s_andn2_b64 exec, exec, s[12:13]
	s_cbranch_execnz .LBB8_761
.LBB8_762:
	s_or_b64 exec, exec, s[10:11]
	v_mov_b32_e32 v3, 0
	global_load_dwordx2 v[0:1], v3, s[2:3] offset:16
	s_mov_b64 s[10:11], exec
	v_mbcnt_lo_u32_b32 v2, s10, 0
	v_mbcnt_hi_u32_b32 v2, s11, v2
	v_cmp_eq_u32_e32 vcc, 0, v2
	s_and_saveexec_b64 s[12:13], vcc
	s_cbranch_execz .LBB8_764
; %bb.763:
	s_bcnt1_i32_b64 s10, s[10:11]
	v_mov_b32_e32 v2, s10
	s_waitcnt vmcnt(0)
	global_atomic_add_x2 v[0:1], v[2:3], off offset:8
.LBB8_764:
	s_or_b64 exec, exec, s[12:13]
	s_waitcnt vmcnt(0)
	global_load_dwordx2 v[2:3], v[0:1], off offset:16
	s_waitcnt vmcnt(0)
	v_cmp_eq_u64_e32 vcc, 0, v[2:3]
	s_cbranch_vccnz .LBB8_766
; %bb.765:
	global_load_dword v0, v[0:1], off offset:24
	v_mov_b32_e32 v1, 0
	s_waitcnt vmcnt(0)
	v_readfirstlane_b32 s10, v0
	s_and_b32 m0, s10, 0xffffff
	global_store_dwordx2 v[2:3], v[0:1], off
	s_sendmsg sendmsg(MSG_INTERRUPT)
.LBB8_766:
	s_or_b64 exec, exec, s[8:9]
	s_branch .LBB8_770
.LBB8_767:                              ;   in Loop: Header=BB8_770 Depth=1
	s_or_b64 exec, exec, s[8:9]
	v_readfirstlane_b32 s8, v0
	s_cmp_eq_u32 s8, 0
	s_cbranch_scc1 .LBB8_769
; %bb.768:                              ;   in Loop: Header=BB8_770 Depth=1
	s_sleep 1
	s_cbranch_execnz .LBB8_770
	s_branch .LBB8_772
.LBB8_769:
	s_branch .LBB8_772
.LBB8_770:                              ; =>This Inner Loop Header: Depth=1
	v_mov_b32_e32 v0, 1
	s_and_saveexec_b64 s[8:9], s[0:1]
	s_cbranch_execz .LBB8_767
; %bb.771:                              ;   in Loop: Header=BB8_770 Depth=1
	global_load_dword v0, v[8:9], off offset:20 glc
	s_waitcnt vmcnt(0)
	buffer_wbinvl1_vol
	v_and_b32_e32 v0, 1, v0
	s_branch .LBB8_767
.LBB8_772:
	global_load_dwordx2 v[0:1], v[10:11], off
	s_and_saveexec_b64 s[8:9], s[0:1]
	s_cbranch_execz .LBB8_775
; %bb.773:
	v_mov_b32_e32 v8, 0
	global_load_dwordx2 v[2:3], v8, s[2:3] offset:40
	global_load_dwordx2 v[11:12], v8, s[2:3] offset:24 glc
	global_load_dwordx2 v[4:5], v8, s[2:3]
	s_waitcnt vmcnt(2)
	v_readfirstlane_b32 s10, v2
	v_readfirstlane_b32 s11, v3
	s_add_u32 s12, s10, 1
	s_addc_u32 s13, s11, 0
	s_add_u32 s0, s12, s4
	s_addc_u32 s1, s13, s5
	s_cmp_eq_u64 s[0:1], 0
	s_cselect_b32 s1, s13, s1
	s_cselect_b32 s0, s12, s0
	s_and_b64 s[4:5], s[0:1], s[10:11]
	s_mul_i32 s5, s5, 24
	s_mul_hi_u32 s10, s4, 24
	s_mul_i32 s4, s4, 24
	s_add_i32 s5, s10, s5
	v_mov_b32_e32 v2, s5
	s_waitcnt vmcnt(0)
	v_add_co_u32_e32 v6, vcc, s4, v4
	v_addc_co_u32_e32 v7, vcc, v5, v2, vcc
	v_mov_b32_e32 v9, s0
	global_store_dwordx2 v[6:7], v[11:12], off
	v_mov_b32_e32 v10, s1
	s_waitcnt vmcnt(0)
	global_atomic_cmpswap_x2 v[4:5], v8, v[9:12], s[2:3] offset:24 glc
	s_mov_b64 s[4:5], 0
	s_waitcnt vmcnt(0)
	v_cmp_ne_u64_e32 vcc, v[4:5], v[11:12]
	s_and_b64 exec, exec, vcc
	s_cbranch_execz .LBB8_775
.LBB8_774:                              ; =>This Inner Loop Header: Depth=1
	s_sleep 1
	global_store_dwordx2 v[6:7], v[4:5], off
	v_mov_b32_e32 v2, s0
	v_mov_b32_e32 v3, s1
	s_waitcnt vmcnt(0)
	global_atomic_cmpswap_x2 v[2:3], v8, v[2:5], s[2:3] offset:24 glc
	s_waitcnt vmcnt(0)
	v_cmp_eq_u64_e32 vcc, v[2:3], v[4:5]
	v_mov_b32_e32 v5, v3
	s_or_b64 s[4:5], vcc, s[4:5]
	v_mov_b32_e32 v4, v2
	s_andn2_b64 exec, exec, s[4:5]
	s_cbranch_execnz .LBB8_774
.LBB8_775:
	s_or_b64 exec, exec, s[8:9]
	s_and_b64 vcc, exec, s[6:7]
	s_cbranch_vccnz .LBB8_664
.LBB8_776:
                                        ; implicit-def: $vgpr2_vgpr3
	s_cbranch_execz .LBB8_803
; %bb.777:
	v_readfirstlane_b32 s0, v30
	v_mov_b32_e32 v8, 0
	v_mov_b32_e32 v9, 0
	v_cmp_eq_u32_e64 s[0:1], s0, v30
	s_and_saveexec_b64 s[4:5], s[0:1]
	s_cbranch_execz .LBB8_783
; %bb.778:
	s_waitcnt vmcnt(0)
	v_mov_b32_e32 v2, 0
	global_load_dwordx2 v[5:6], v2, s[2:3] offset:24 glc
	s_waitcnt vmcnt(0)
	buffer_wbinvl1_vol
	global_load_dwordx2 v[3:4], v2, s[2:3] offset:40
	global_load_dwordx2 v[7:8], v2, s[2:3]
	s_waitcnt vmcnt(1)
	v_and_b32_e32 v3, v3, v5
	v_and_b32_e32 v4, v4, v6
	v_mul_lo_u32 v4, v4, 24
	v_mul_hi_u32 v9, v3, 24
	v_mul_lo_u32 v3, v3, 24
	v_add_u32_e32 v4, v9, v4
	s_waitcnt vmcnt(0)
	v_add_co_u32_e32 v3, vcc, v7, v3
	v_addc_co_u32_e32 v4, vcc, v8, v4, vcc
	global_load_dwordx2 v[3:4], v[3:4], off glc
	s_waitcnt vmcnt(0)
	global_atomic_cmpswap_x2 v[8:9], v2, v[3:6], s[2:3] offset:24 glc
	s_waitcnt vmcnt(0)
	buffer_wbinvl1_vol
	v_cmp_ne_u64_e32 vcc, v[8:9], v[5:6]
	s_and_saveexec_b64 s[6:7], vcc
	s_cbranch_execz .LBB8_782
; %bb.779:
	s_mov_b64 s[8:9], 0
.LBB8_780:                              ; =>This Inner Loop Header: Depth=1
	s_sleep 1
	global_load_dwordx2 v[3:4], v2, s[2:3] offset:40
	global_load_dwordx2 v[10:11], v2, s[2:3]
	v_mov_b32_e32 v5, v8
	v_mov_b32_e32 v6, v9
	s_waitcnt vmcnt(1)
	v_and_b32_e32 v3, v3, v5
	s_waitcnt vmcnt(0)
	v_mad_u64_u32 v[7:8], s[10:11], v3, 24, v[10:11]
	v_and_b32_e32 v4, v4, v6
	v_mov_b32_e32 v3, v8
	v_mad_u64_u32 v[3:4], s[10:11], v4, 24, v[3:4]
	v_mov_b32_e32 v8, v3
	global_load_dwordx2 v[3:4], v[7:8], off glc
	s_waitcnt vmcnt(0)
	global_atomic_cmpswap_x2 v[8:9], v2, v[3:6], s[2:3] offset:24 glc
	s_waitcnt vmcnt(0)
	buffer_wbinvl1_vol
	v_cmp_eq_u64_e32 vcc, v[8:9], v[5:6]
	s_or_b64 s[8:9], vcc, s[8:9]
	s_andn2_b64 exec, exec, s[8:9]
	s_cbranch_execnz .LBB8_780
; %bb.781:
	s_or_b64 exec, exec, s[8:9]
.LBB8_782:
	s_or_b64 exec, exec, s[6:7]
.LBB8_783:
	s_or_b64 exec, exec, s[4:5]
	s_waitcnt vmcnt(0)
	v_mov_b32_e32 v2, 0
	global_load_dwordx2 v[10:11], v2, s[2:3] offset:40
	global_load_dwordx4 v[4:7], v2, s[2:3]
	v_readfirstlane_b32 s5, v9
	v_readfirstlane_b32 s4, v8
	s_mov_b64 s[6:7], exec
	s_waitcnt vmcnt(1)
	v_readfirstlane_b32 s8, v10
	v_readfirstlane_b32 s9, v11
	s_and_b64 s[8:9], s[8:9], s[4:5]
	s_mul_i32 s10, s9, 24
	s_mul_hi_u32 s11, s8, 24
	s_mul_i32 s12, s8, 24
	s_add_i32 s10, s11, s10
	v_mov_b32_e32 v3, s10
	s_waitcnt vmcnt(0)
	v_add_co_u32_e32 v8, vcc, s12, v4
	v_addc_co_u32_e32 v9, vcc, v5, v3, vcc
	s_and_saveexec_b64 s[10:11], s[0:1]
	s_cbranch_execz .LBB8_785
; %bb.784:
	v_mov_b32_e32 v11, s7
	v_mov_b32_e32 v10, s6
	;; [unrolled: 1-line block ×4, first 2 shown]
	global_store_dwordx4 v[8:9], v[10:13], off offset:8
.LBB8_785:
	s_or_b64 exec, exec, s[10:11]
	s_lshl_b64 s[6:7], s[8:9], 12
	v_mov_b32_e32 v3, s7
	v_add_co_u32_e32 v10, vcc, s6, v6
	v_addc_co_u32_e32 v11, vcc, v7, v3, vcc
	s_movk_i32 s6, 0xff1f
	v_and_or_b32 v0, v0, s6, 32
	s_mov_b32 s8, 0
	v_mov_b32_e32 v3, v2
	v_readfirstlane_b32 s6, v10
	v_readfirstlane_b32 s7, v11
	v_add_co_u32_e32 v6, vcc, v10, v29
	s_mov_b32 s9, s8
	s_mov_b32 s10, s8
	;; [unrolled: 1-line block ×3, first 2 shown]
	s_nop 0
	global_store_dwordx4 v29, v[0:3], s[6:7]
	v_addc_co_u32_e32 v7, vcc, 0, v11, vcc
	v_mov_b32_e32 v0, s8
	v_mov_b32_e32 v1, s9
	;; [unrolled: 1-line block ×4, first 2 shown]
	global_store_dwordx4 v29, v[0:3], s[6:7] offset:16
	global_store_dwordx4 v29, v[0:3], s[6:7] offset:32
	;; [unrolled: 1-line block ×3, first 2 shown]
	s_and_saveexec_b64 s[6:7], s[0:1]
	s_cbranch_execz .LBB8_793
; %bb.786:
	v_mov_b32_e32 v10, 0
	global_load_dwordx2 v[13:14], v10, s[2:3] offset:32 glc
	global_load_dwordx2 v[0:1], v10, s[2:3] offset:40
	v_mov_b32_e32 v11, s4
	v_mov_b32_e32 v12, s5
	s_waitcnt vmcnt(0)
	v_readfirstlane_b32 s8, v0
	v_readfirstlane_b32 s9, v1
	s_and_b64 s[8:9], s[8:9], s[4:5]
	s_mul_i32 s9, s9, 24
	s_mul_hi_u32 s10, s8, 24
	s_mul_i32 s8, s8, 24
	s_add_i32 s9, s10, s9
	v_mov_b32_e32 v0, s9
	v_add_co_u32_e32 v4, vcc, s8, v4
	v_addc_co_u32_e32 v5, vcc, v5, v0, vcc
	global_store_dwordx2 v[4:5], v[13:14], off
	s_waitcnt vmcnt(0)
	global_atomic_cmpswap_x2 v[2:3], v10, v[11:14], s[2:3] offset:32 glc
	s_waitcnt vmcnt(0)
	v_cmp_ne_u64_e32 vcc, v[2:3], v[13:14]
	s_and_saveexec_b64 s[8:9], vcc
	s_cbranch_execz .LBB8_789
; %bb.787:
	s_mov_b64 s[10:11], 0
.LBB8_788:                              ; =>This Inner Loop Header: Depth=1
	s_sleep 1
	global_store_dwordx2 v[4:5], v[2:3], off
	v_mov_b32_e32 v0, s4
	v_mov_b32_e32 v1, s5
	s_waitcnt vmcnt(0)
	global_atomic_cmpswap_x2 v[0:1], v10, v[0:3], s[2:3] offset:32 glc
	s_waitcnt vmcnt(0)
	v_cmp_eq_u64_e32 vcc, v[0:1], v[2:3]
	v_mov_b32_e32 v3, v1
	s_or_b64 s[10:11], vcc, s[10:11]
	v_mov_b32_e32 v2, v0
	s_andn2_b64 exec, exec, s[10:11]
	s_cbranch_execnz .LBB8_788
.LBB8_789:
	s_or_b64 exec, exec, s[8:9]
	v_mov_b32_e32 v3, 0
	global_load_dwordx2 v[0:1], v3, s[2:3] offset:16
	s_mov_b64 s[8:9], exec
	v_mbcnt_lo_u32_b32 v2, s8, 0
	v_mbcnt_hi_u32_b32 v2, s9, v2
	v_cmp_eq_u32_e32 vcc, 0, v2
	s_and_saveexec_b64 s[10:11], vcc
	s_cbranch_execz .LBB8_791
; %bb.790:
	s_bcnt1_i32_b64 s8, s[8:9]
	v_mov_b32_e32 v2, s8
	s_waitcnt vmcnt(0)
	global_atomic_add_x2 v[0:1], v[2:3], off offset:8
.LBB8_791:
	s_or_b64 exec, exec, s[10:11]
	s_waitcnt vmcnt(0)
	global_load_dwordx2 v[2:3], v[0:1], off offset:16
	s_waitcnt vmcnt(0)
	v_cmp_eq_u64_e32 vcc, 0, v[2:3]
	s_cbranch_vccnz .LBB8_793
; %bb.792:
	global_load_dword v0, v[0:1], off offset:24
	v_mov_b32_e32 v1, 0
	s_waitcnt vmcnt(0)
	v_readfirstlane_b32 s8, v0
	s_and_b32 m0, s8, 0xffffff
	global_store_dwordx2 v[2:3], v[0:1], off
	s_sendmsg sendmsg(MSG_INTERRUPT)
.LBB8_793:
	s_or_b64 exec, exec, s[6:7]
	s_branch .LBB8_797
.LBB8_794:                              ;   in Loop: Header=BB8_797 Depth=1
	s_or_b64 exec, exec, s[6:7]
	v_readfirstlane_b32 s6, v0
	s_cmp_eq_u32 s6, 0
	s_cbranch_scc1 .LBB8_796
; %bb.795:                              ;   in Loop: Header=BB8_797 Depth=1
	s_sleep 1
	s_cbranch_execnz .LBB8_797
	s_branch .LBB8_799
.LBB8_796:
	s_branch .LBB8_799
.LBB8_797:                              ; =>This Inner Loop Header: Depth=1
	v_mov_b32_e32 v0, 1
	s_and_saveexec_b64 s[6:7], s[0:1]
	s_cbranch_execz .LBB8_794
; %bb.798:                              ;   in Loop: Header=BB8_797 Depth=1
	global_load_dword v0, v[8:9], off offset:20 glc
	s_waitcnt vmcnt(0)
	buffer_wbinvl1_vol
	v_and_b32_e32 v0, 1, v0
	s_branch .LBB8_794
.LBB8_799:
	global_load_dwordx2 v[2:3], v[6:7], off
	s_and_saveexec_b64 s[6:7], s[0:1]
	s_cbranch_execz .LBB8_802
; %bb.800:
	v_mov_b32_e32 v8, 0
	global_load_dwordx2 v[0:1], v8, s[2:3] offset:40
	global_load_dwordx2 v[11:12], v8, s[2:3] offset:24 glc
	global_load_dwordx2 v[4:5], v8, s[2:3]
	s_waitcnt vmcnt(2)
	v_readfirstlane_b32 s8, v0
	v_readfirstlane_b32 s9, v1
	s_add_u32 s10, s8, 1
	s_addc_u32 s11, s9, 0
	s_add_u32 s0, s10, s4
	s_addc_u32 s1, s11, s5
	s_cmp_eq_u64 s[0:1], 0
	s_cselect_b32 s1, s11, s1
	s_cselect_b32 s0, s10, s0
	s_and_b64 s[4:5], s[0:1], s[8:9]
	s_mul_i32 s5, s5, 24
	s_mul_hi_u32 s8, s4, 24
	s_mul_i32 s4, s4, 24
	s_add_i32 s5, s8, s5
	v_mov_b32_e32 v1, s5
	s_waitcnt vmcnt(0)
	v_add_co_u32_e32 v0, vcc, s4, v4
	v_addc_co_u32_e32 v1, vcc, v5, v1, vcc
	v_mov_b32_e32 v9, s0
	global_store_dwordx2 v[0:1], v[11:12], off
	v_mov_b32_e32 v10, s1
	s_waitcnt vmcnt(0)
	global_atomic_cmpswap_x2 v[6:7], v8, v[9:12], s[2:3] offset:24 glc
	s_mov_b64 s[4:5], 0
	s_waitcnt vmcnt(0)
	v_cmp_ne_u64_e32 vcc, v[6:7], v[11:12]
	s_and_b64 exec, exec, vcc
	s_cbranch_execz .LBB8_802
.LBB8_801:                              ; =>This Inner Loop Header: Depth=1
	s_sleep 1
	global_store_dwordx2 v[0:1], v[6:7], off
	v_mov_b32_e32 v4, s0
	v_mov_b32_e32 v5, s1
	s_waitcnt vmcnt(0)
	global_atomic_cmpswap_x2 v[4:5], v8, v[4:7], s[2:3] offset:24 glc
	s_waitcnt vmcnt(0)
	v_cmp_eq_u64_e32 vcc, v[4:5], v[6:7]
	v_mov_b32_e32 v7, v5
	s_or_b64 s[4:5], vcc, s[4:5]
	v_mov_b32_e32 v6, v4
	s_andn2_b64 exec, exec, s[4:5]
	s_cbranch_execnz .LBB8_801
.LBB8_802:
	s_or_b64 exec, exec, s[6:7]
.LBB8_803:
	v_readfirstlane_b32 s0, v30
	s_waitcnt vmcnt(0)
	v_mov_b32_e32 v0, 0
	v_mov_b32_e32 v1, 0
	v_cmp_eq_u32_e64 s[0:1], s0, v30
	s_and_saveexec_b64 s[4:5], s[0:1]
	s_cbranch_execz .LBB8_809
; %bb.804:
	v_mov_b32_e32 v4, 0
	global_load_dwordx2 v[7:8], v4, s[2:3] offset:24 glc
	s_waitcnt vmcnt(0)
	buffer_wbinvl1_vol
	global_load_dwordx2 v[0:1], v4, s[2:3] offset:40
	global_load_dwordx2 v[5:6], v4, s[2:3]
	s_waitcnt vmcnt(1)
	v_and_b32_e32 v0, v0, v7
	v_and_b32_e32 v1, v1, v8
	v_mul_lo_u32 v1, v1, 24
	v_mul_hi_u32 v9, v0, 24
	v_mul_lo_u32 v0, v0, 24
	v_add_u32_e32 v1, v9, v1
	s_waitcnt vmcnt(0)
	v_add_co_u32_e32 v0, vcc, v5, v0
	v_addc_co_u32_e32 v1, vcc, v6, v1, vcc
	global_load_dwordx2 v[5:6], v[0:1], off glc
	s_waitcnt vmcnt(0)
	global_atomic_cmpswap_x2 v[0:1], v4, v[5:8], s[2:3] offset:24 glc
	s_waitcnt vmcnt(0)
	buffer_wbinvl1_vol
	v_cmp_ne_u64_e32 vcc, v[0:1], v[7:8]
	s_and_saveexec_b64 s[6:7], vcc
	s_cbranch_execz .LBB8_808
; %bb.805:
	s_mov_b64 s[8:9], 0
.LBB8_806:                              ; =>This Inner Loop Header: Depth=1
	s_sleep 1
	global_load_dwordx2 v[5:6], v4, s[2:3] offset:40
	global_load_dwordx2 v[9:10], v4, s[2:3]
	v_mov_b32_e32 v8, v1
	v_mov_b32_e32 v7, v0
	s_waitcnt vmcnt(1)
	v_and_b32_e32 v0, v5, v7
	s_waitcnt vmcnt(0)
	v_mad_u64_u32 v[0:1], s[10:11], v0, 24, v[9:10]
	v_and_b32_e32 v5, v6, v8
	v_mad_u64_u32 v[5:6], s[10:11], v5, 24, v[1:2]
	v_mov_b32_e32 v1, v5
	global_load_dwordx2 v[5:6], v[0:1], off glc
	s_waitcnt vmcnt(0)
	global_atomic_cmpswap_x2 v[0:1], v4, v[5:8], s[2:3] offset:24 glc
	s_waitcnt vmcnt(0)
	buffer_wbinvl1_vol
	v_cmp_eq_u64_e32 vcc, v[0:1], v[7:8]
	s_or_b64 s[8:9], vcc, s[8:9]
	s_andn2_b64 exec, exec, s[8:9]
	s_cbranch_execnz .LBB8_806
; %bb.807:
	s_or_b64 exec, exec, s[8:9]
.LBB8_808:
	s_or_b64 exec, exec, s[6:7]
.LBB8_809:
	s_or_b64 exec, exec, s[4:5]
	v_mov_b32_e32 v5, 0
	global_load_dwordx2 v[10:11], v5, s[2:3] offset:40
	global_load_dwordx4 v[6:9], v5, s[2:3]
	v_readfirstlane_b32 s5, v1
	v_readfirstlane_b32 s4, v0
	s_mov_b64 s[6:7], exec
	s_waitcnt vmcnt(1)
	v_readfirstlane_b32 s8, v10
	v_readfirstlane_b32 s9, v11
	s_and_b64 s[8:9], s[8:9], s[4:5]
	s_mul_i32 s10, s9, 24
	s_mul_hi_u32 s11, s8, 24
	s_mul_i32 s12, s8, 24
	s_add_i32 s10, s11, s10
	v_mov_b32_e32 v0, s10
	s_waitcnt vmcnt(0)
	v_add_co_u32_e32 v10, vcc, s12, v6
	v_addc_co_u32_e32 v11, vcc, v7, v0, vcc
	s_and_saveexec_b64 s[10:11], s[0:1]
	s_cbranch_execz .LBB8_811
; %bb.810:
	v_mov_b32_e32 v13, s7
	v_mov_b32_e32 v12, s6
	;; [unrolled: 1-line block ×4, first 2 shown]
	global_store_dwordx4 v[10:11], v[12:15], off offset:8
.LBB8_811:
	s_or_b64 exec, exec, s[10:11]
	s_lshl_b64 s[6:7], s[8:9], 12
	v_mov_b32_e32 v0, s7
	v_add_co_u32_e32 v1, vcc, s6, v8
	v_addc_co_u32_e32 v0, vcc, v9, v0, vcc
	s_movk_i32 s6, 0xff1d
	v_and_or_b32 v2, v2, s6, 34
	s_mov_b32 s8, 0
	v_mov_b32_e32 v4, 2
	v_readfirstlane_b32 s6, v1
	v_readfirstlane_b32 s7, v0
	s_mov_b32 s9, s8
	s_mov_b32 s10, s8
	;; [unrolled: 1-line block ×3, first 2 shown]
	s_nop 1
	global_store_dwordx4 v29, v[2:5], s[6:7]
	v_mov_b32_e32 v0, s8
	v_mov_b32_e32 v1, s9
	v_mov_b32_e32 v2, s10
	v_mov_b32_e32 v3, s11
	global_store_dwordx4 v29, v[0:3], s[6:7] offset:16
	global_store_dwordx4 v29, v[0:3], s[6:7] offset:32
	global_store_dwordx4 v29, v[0:3], s[6:7] offset:48
	s_and_saveexec_b64 s[6:7], s[0:1]
	s_cbranch_execz .LBB8_819
; %bb.812:
	v_mov_b32_e32 v8, 0
	global_load_dwordx2 v[14:15], v8, s[2:3] offset:32 glc
	global_load_dwordx2 v[0:1], v8, s[2:3] offset:40
	v_mov_b32_e32 v12, s4
	v_mov_b32_e32 v13, s5
	s_waitcnt vmcnt(0)
	v_readfirstlane_b32 s8, v0
	v_readfirstlane_b32 s9, v1
	s_and_b64 s[8:9], s[8:9], s[4:5]
	s_mul_i32 s9, s9, 24
	s_mul_hi_u32 s10, s8, 24
	s_mul_i32 s8, s8, 24
	s_add_i32 s9, s10, s9
	v_mov_b32_e32 v0, s9
	v_add_co_u32_e32 v4, vcc, s8, v6
	v_addc_co_u32_e32 v5, vcc, v7, v0, vcc
	global_store_dwordx2 v[4:5], v[14:15], off
	s_waitcnt vmcnt(0)
	global_atomic_cmpswap_x2 v[2:3], v8, v[12:15], s[2:3] offset:32 glc
	s_waitcnt vmcnt(0)
	v_cmp_ne_u64_e32 vcc, v[2:3], v[14:15]
	s_and_saveexec_b64 s[8:9], vcc
	s_cbranch_execz .LBB8_815
; %bb.813:
	s_mov_b64 s[10:11], 0
.LBB8_814:                              ; =>This Inner Loop Header: Depth=1
	s_sleep 1
	global_store_dwordx2 v[4:5], v[2:3], off
	v_mov_b32_e32 v0, s4
	v_mov_b32_e32 v1, s5
	s_waitcnt vmcnt(0)
	global_atomic_cmpswap_x2 v[0:1], v8, v[0:3], s[2:3] offset:32 glc
	s_waitcnt vmcnt(0)
	v_cmp_eq_u64_e32 vcc, v[0:1], v[2:3]
	v_mov_b32_e32 v3, v1
	s_or_b64 s[10:11], vcc, s[10:11]
	v_mov_b32_e32 v2, v0
	s_andn2_b64 exec, exec, s[10:11]
	s_cbranch_execnz .LBB8_814
.LBB8_815:
	s_or_b64 exec, exec, s[8:9]
	v_mov_b32_e32 v3, 0
	global_load_dwordx2 v[0:1], v3, s[2:3] offset:16
	s_mov_b64 s[8:9], exec
	v_mbcnt_lo_u32_b32 v2, s8, 0
	v_mbcnt_hi_u32_b32 v2, s9, v2
	v_cmp_eq_u32_e32 vcc, 0, v2
	s_and_saveexec_b64 s[10:11], vcc
	s_cbranch_execz .LBB8_817
; %bb.816:
	s_bcnt1_i32_b64 s8, s[8:9]
	v_mov_b32_e32 v2, s8
	s_waitcnt vmcnt(0)
	global_atomic_add_x2 v[0:1], v[2:3], off offset:8
.LBB8_817:
	s_or_b64 exec, exec, s[10:11]
	s_waitcnt vmcnt(0)
	global_load_dwordx2 v[2:3], v[0:1], off offset:16
	s_waitcnt vmcnt(0)
	v_cmp_eq_u64_e32 vcc, 0, v[2:3]
	s_cbranch_vccnz .LBB8_819
; %bb.818:
	global_load_dword v0, v[0:1], off offset:24
	v_mov_b32_e32 v1, 0
	s_waitcnt vmcnt(0)
	v_readfirstlane_b32 s8, v0
	s_and_b32 m0, s8, 0xffffff
	global_store_dwordx2 v[2:3], v[0:1], off
	s_sendmsg sendmsg(MSG_INTERRUPT)
.LBB8_819:
	s_or_b64 exec, exec, s[6:7]
	s_branch .LBB8_823
.LBB8_820:                              ;   in Loop: Header=BB8_823 Depth=1
	s_or_b64 exec, exec, s[6:7]
	v_readfirstlane_b32 s6, v0
	s_cmp_eq_u32 s6, 0
	s_cbranch_scc1 .LBB8_822
; %bb.821:                              ;   in Loop: Header=BB8_823 Depth=1
	s_sleep 1
	s_cbranch_execnz .LBB8_823
	s_branch .LBB8_825
.LBB8_822:
	s_branch .LBB8_825
.LBB8_823:                              ; =>This Inner Loop Header: Depth=1
	v_mov_b32_e32 v0, 1
	s_and_saveexec_b64 s[6:7], s[0:1]
	s_cbranch_execz .LBB8_820
; %bb.824:                              ;   in Loop: Header=BB8_823 Depth=1
	global_load_dword v0, v[10:11], off offset:20 glc
	s_waitcnt vmcnt(0)
	buffer_wbinvl1_vol
	v_and_b32_e32 v0, 1, v0
	s_branch .LBB8_820
.LBB8_825:
	s_and_saveexec_b64 s[6:7], s[0:1]
	s_cbranch_execz .LBB8_828
; %bb.826:
	v_mov_b32_e32 v6, 0
	global_load_dwordx2 v[0:1], v6, s[2:3] offset:40
	global_load_dwordx2 v[9:10], v6, s[2:3] offset:24 glc
	global_load_dwordx2 v[2:3], v6, s[2:3]
	s_waitcnt vmcnt(2)
	v_readfirstlane_b32 s6, v0
	v_readfirstlane_b32 s7, v1
	s_add_u32 s8, s6, 1
	s_addc_u32 s9, s7, 0
	s_add_u32 s0, s8, s4
	s_addc_u32 s1, s9, s5
	s_cmp_eq_u64 s[0:1], 0
	s_cselect_b32 s1, s9, s1
	s_cselect_b32 s0, s8, s0
	s_and_b64 s[4:5], s[0:1], s[6:7]
	s_mul_i32 s5, s5, 24
	s_mul_hi_u32 s6, s4, 24
	s_mul_i32 s4, s4, 24
	s_add_i32 s5, s6, s5
	v_mov_b32_e32 v0, s5
	s_waitcnt vmcnt(0)
	v_add_co_u32_e32 v4, vcc, s4, v2
	v_addc_co_u32_e32 v5, vcc, v3, v0, vcc
	v_mov_b32_e32 v7, s0
	global_store_dwordx2 v[4:5], v[9:10], off
	v_mov_b32_e32 v8, s1
	s_waitcnt vmcnt(0)
	global_atomic_cmpswap_x2 v[2:3], v6, v[7:10], s[2:3] offset:24 glc
	s_mov_b64 s[4:5], 0
	s_waitcnt vmcnt(0)
	v_cmp_ne_u64_e32 vcc, v[2:3], v[9:10]
	s_and_b64 exec, exec, vcc
	s_cbranch_execz .LBB8_828
.LBB8_827:                              ; =>This Inner Loop Header: Depth=1
	s_sleep 1
	global_store_dwordx2 v[4:5], v[2:3], off
	v_mov_b32_e32 v0, s0
	v_mov_b32_e32 v1, s1
	s_waitcnt vmcnt(0)
	global_atomic_cmpswap_x2 v[0:1], v6, v[0:3], s[2:3] offset:24 glc
	s_waitcnt vmcnt(0)
	v_cmp_eq_u64_e32 vcc, v[0:1], v[2:3]
	v_mov_b32_e32 v3, v1
	s_or_b64 s[4:5], vcc, s[4:5]
	v_mov_b32_e32 v2, v0
	s_andn2_b64 exec, exec, s[4:5]
	s_cbranch_execnz .LBB8_827
.LBB8_828:
	s_endpgm
	.section	.rodata,"a",@progbits
	.p2align	6, 0x0
	.amdhsa_kernel _ZN19hipPrintfStressTest26kernel_synchronized_printfEv
		.amdhsa_group_segment_fixed_size 0
		.amdhsa_private_segment_fixed_size 0
		.amdhsa_kernarg_size 256
		.amdhsa_user_sgpr_count 6
		.amdhsa_user_sgpr_private_segment_buffer 1
		.amdhsa_user_sgpr_dispatch_ptr 0
		.amdhsa_user_sgpr_queue_ptr 0
		.amdhsa_user_sgpr_kernarg_segment_ptr 1
		.amdhsa_user_sgpr_dispatch_id 0
		.amdhsa_user_sgpr_flat_scratch_init 0
		.amdhsa_user_sgpr_private_segment_size 0
		.amdhsa_uses_dynamic_stack 0
		.amdhsa_system_sgpr_private_segment_wavefront_offset 0
		.amdhsa_system_sgpr_workgroup_id_x 1
		.amdhsa_system_sgpr_workgroup_id_y 0
		.amdhsa_system_sgpr_workgroup_id_z 0
		.amdhsa_system_sgpr_workgroup_info 0
		.amdhsa_system_vgpr_workitem_id 0
		.amdhsa_next_free_vgpr 33
		.amdhsa_next_free_sgpr 23
		.amdhsa_reserve_vcc 1
		.amdhsa_reserve_flat_scratch 0
		.amdhsa_float_round_mode_32 0
		.amdhsa_float_round_mode_16_64 0
		.amdhsa_float_denorm_mode_32 3
		.amdhsa_float_denorm_mode_16_64 3
		.amdhsa_dx10_clamp 1
		.amdhsa_ieee_mode 1
		.amdhsa_fp16_overflow 0
		.amdhsa_exception_fp_ieee_invalid_op 0
		.amdhsa_exception_fp_denorm_src 0
		.amdhsa_exception_fp_ieee_div_zero 0
		.amdhsa_exception_fp_ieee_overflow 0
		.amdhsa_exception_fp_ieee_underflow 0
		.amdhsa_exception_fp_ieee_inexact 0
		.amdhsa_exception_int_div_zero 0
	.end_amdhsa_kernel
	.text
.Lfunc_end8:
	.size	_ZN19hipPrintfStressTest26kernel_synchronized_printfEv, .Lfunc_end8-_ZN19hipPrintfStressTest26kernel_synchronized_printfEv
                                        ; -- End function
	.set _ZN19hipPrintfStressTest26kernel_synchronized_printfEv.num_vgpr, 33
	.set _ZN19hipPrintfStressTest26kernel_synchronized_printfEv.num_agpr, 0
	.set _ZN19hipPrintfStressTest26kernel_synchronized_printfEv.numbered_sgpr, 23
	.set _ZN19hipPrintfStressTest26kernel_synchronized_printfEv.num_named_barrier, 0
	.set _ZN19hipPrintfStressTest26kernel_synchronized_printfEv.private_seg_size, 0
	.set _ZN19hipPrintfStressTest26kernel_synchronized_printfEv.uses_vcc, 1
	.set _ZN19hipPrintfStressTest26kernel_synchronized_printfEv.uses_flat_scratch, 0
	.set _ZN19hipPrintfStressTest26kernel_synchronized_printfEv.has_dyn_sized_stack, 0
	.set _ZN19hipPrintfStressTest26kernel_synchronized_printfEv.has_recursion, 0
	.set _ZN19hipPrintfStressTest26kernel_synchronized_printfEv.has_indirect_call, 0
	.section	.AMDGPU.csdata,"",@progbits
; Kernel info:
; codeLenInByte = 27584
; TotalNumSgprs: 27
; NumVgprs: 33
; ScratchSize: 0
; MemoryBound: 0
; FloatMode: 240
; IeeeMode: 1
; LDSByteSize: 0 bytes/workgroup (compile time only)
; SGPRBlocks: 3
; VGPRBlocks: 8
; NumSGPRsForWavesPerEU: 27
; NumVGPRsForWavesPerEU: 33
; Occupancy: 7
; WaveLimiterHint : 1
; COMPUTE_PGM_RSRC2:SCRATCH_EN: 0
; COMPUTE_PGM_RSRC2:USER_SGPR: 6
; COMPUTE_PGM_RSRC2:TRAP_HANDLER: 0
; COMPUTE_PGM_RSRC2:TGID_X_EN: 1
; COMPUTE_PGM_RSRC2:TGID_Y_EN: 0
; COMPUTE_PGM_RSRC2:TGID_Z_EN: 0
; COMPUTE_PGM_RSRC2:TIDIG_COMP_CNT: 0
	.section	.AMDGPU.gpr_maximums,"",@progbits
	.set amdgpu.max_num_vgpr, 0
	.set amdgpu.max_num_agpr, 0
	.set amdgpu.max_num_sgpr, 0
	.section	.AMDGPU.csdata,"",@progbits
	.type	.str,@object                    ; @.str
	.section	.rodata.str1.1,"aMS",@progbits,1
.str:
	.asciz	"%s"
	.size	.str, 3

	.type	.str.1,@object                  ; @.str.1
.str.1:
	.asciz	"Hello World from Device.Iam printing 55 bytes of data.\n"
	.size	.str.1, 56

	.type	.str.2,@object                  ; @.str.2
.str.2:
	.asciz	"Hello World from Device.Iam printing from even thread.\n"
	.size	.str.2, 56

	.type	.str.3,@object                  ; @.str.3
.str.3:
	.asciz	"Hello World from Device.This is odd thread.\n"
	.size	.str.3, 45

	.type	.str.4,@object                  ; @.str.4
.str.4:
	.asciz	"Hello World from Device.Iam printing (threadID,number)="
	.size	.str.4, 56

	.type	.str.5,@object                  ; @.str.5
.str.5:
	.asciz	"%s%u,%d\n"
	.size	.str.5, 9

	.type	.str.6,@object                  ; @.str.6
.str.6:
	.asciz	"Hello World from Device.Iam printing number="
	.size	.str.6, 45

	.type	.str.7,@object                  ; @.str.7
.str.7:
	.asciz	"%s%u\n"
	.size	.str.7, 6

	.type	.str.8,@object                  ; @.str.8
.str.8:
	.asciz	"Hello World from Device.Iam printing decimal number="
	.size	.str.8, 53

	.type	.str.9,@object                  ; @.str.9
.str.9:
	.asciz	"%s%.*f %.*e\n"
	.size	.str.9, 13

	.type	.str.10,@object                 ; @.str.10
.str.10:
	.asciz	"Hello World from Device. The sum of all threadID = "
	.size	.str.10, 52

	.type	__hip_cuid_b363c0235b18b62b,@object ; @__hip_cuid_b363c0235b18b62b
	.section	.bss,"aw",@nobits
	.globl	__hip_cuid_b363c0235b18b62b
__hip_cuid_b363c0235b18b62b:
	.byte	0                               ; 0x0
	.size	__hip_cuid_b363c0235b18b62b, 1

	.ident	"AMD clang version 22.0.0git (https://github.com/RadeonOpenCompute/llvm-project roc-7.2.4 26084 f58b06dce1f9c15707c5f808fd002e18c2accf7e)"
	.section	".note.GNU-stack","",@progbits
	.addrsig
	.addrsig_sym __hip_cuid_b363c0235b18b62b
	.amdgpu_metadata
---
amdhsa.kernels:
  - .args:
      - .offset:         0
        .size:           4
        .value_kind:     by_value
      - .offset:         8
        .size:           4
        .value_kind:     hidden_block_count_x
      - .offset:         12
        .size:           4
        .value_kind:     hidden_block_count_y
      - .offset:         16
        .size:           4
        .value_kind:     hidden_block_count_z
      - .offset:         20
        .size:           2
        .value_kind:     hidden_group_size_x
      - .offset:         22
        .size:           2
        .value_kind:     hidden_group_size_y
      - .offset:         24
        .size:           2
        .value_kind:     hidden_group_size_z
      - .offset:         26
        .size:           2
        .value_kind:     hidden_remainder_x
      - .offset:         28
        .size:           2
        .value_kind:     hidden_remainder_y
      - .offset:         30
        .size:           2
        .value_kind:     hidden_remainder_z
      - .offset:         48
        .size:           8
        .value_kind:     hidden_global_offset_x
      - .offset:         56
        .size:           8
        .value_kind:     hidden_global_offset_y
      - .offset:         64
        .size:           8
        .value_kind:     hidden_global_offset_z
      - .offset:         72
        .size:           2
        .value_kind:     hidden_grid_dims
      - .offset:         88
        .size:           8
        .value_kind:     hidden_hostcall_buffer
    .group_segment_fixed_size: 0
    .kernarg_segment_align: 8
    .kernarg_segment_size: 264
    .language:       OpenCL C
    .language_version:
      - 2
      - 0
    .max_flat_workgroup_size: 1024
    .name:           _ZN19hipPrintfStressTest22kernel_printf_conststrEj
    .private_segment_fixed_size: 0
    .sgpr_count:     35
    .sgpr_spill_count: 0
    .symbol:         _ZN19hipPrintfStressTest22kernel_printf_conststrEj.kd
    .uniform_work_group_size: 1
    .uses_dynamic_stack: false
    .vgpr_count:     33
    .vgpr_spill_count: 0
    .wavefront_size: 64
  - .args:
      - .offset:         0
        .size:           4
        .value_kind:     by_value
      - .offset:         8
        .size:           4
        .value_kind:     hidden_block_count_x
      - .offset:         12
        .size:           4
        .value_kind:     hidden_block_count_y
      - .offset:         16
        .size:           4
        .value_kind:     hidden_block_count_z
      - .offset:         20
        .size:           2
        .value_kind:     hidden_group_size_x
      - .offset:         22
        .size:           2
        .value_kind:     hidden_group_size_y
      - .offset:         24
        .size:           2
        .value_kind:     hidden_group_size_z
      - .offset:         26
        .size:           2
        .value_kind:     hidden_remainder_x
      - .offset:         28
        .size:           2
        .value_kind:     hidden_remainder_y
      - .offset:         30
        .size:           2
        .value_kind:     hidden_remainder_z
      - .offset:         48
        .size:           8
        .value_kind:     hidden_global_offset_x
      - .offset:         56
        .size:           8
        .value_kind:     hidden_global_offset_y
      - .offset:         64
        .size:           8
        .value_kind:     hidden_global_offset_z
      - .offset:         72
        .size:           2
        .value_kind:     hidden_grid_dims
      - .offset:         88
        .size:           8
        .value_kind:     hidden_hostcall_buffer
    .group_segment_fixed_size: 0
    .kernarg_segment_align: 8
    .kernarg_segment_size: 264
    .language:       OpenCL C
    .language_version:
      - 2
      - 0
    .max_flat_workgroup_size: 1024
    .name:           _ZN19hipPrintfStressTest32kernel_printf_two_conditionalstrEj
    .private_segment_fixed_size: 0
    .sgpr_count:     42
    .sgpr_spill_count: 0
    .symbol:         _ZN19hipPrintfStressTest32kernel_printf_two_conditionalstrEj.kd
    .uniform_work_group_size: 1
    .uses_dynamic_stack: false
    .vgpr_count:     33
    .vgpr_spill_count: 0
    .wavefront_size: 64
  - .args:
      - .offset:         0
        .size:           4
        .value_kind:     by_value
      - .offset:         8
        .size:           4
        .value_kind:     hidden_block_count_x
      - .offset:         12
        .size:           4
        .value_kind:     hidden_block_count_y
      - .offset:         16
        .size:           4
        .value_kind:     hidden_block_count_z
      - .offset:         20
        .size:           2
        .value_kind:     hidden_group_size_x
      - .offset:         22
        .size:           2
        .value_kind:     hidden_group_size_y
      - .offset:         24
        .size:           2
        .value_kind:     hidden_group_size_z
      - .offset:         26
        .size:           2
        .value_kind:     hidden_remainder_x
      - .offset:         28
        .size:           2
        .value_kind:     hidden_remainder_y
      - .offset:         30
        .size:           2
        .value_kind:     hidden_remainder_z
      - .offset:         48
        .size:           8
        .value_kind:     hidden_global_offset_x
      - .offset:         56
        .size:           8
        .value_kind:     hidden_global_offset_y
      - .offset:         64
        .size:           8
        .value_kind:     hidden_global_offset_z
      - .offset:         72
        .size:           2
        .value_kind:     hidden_grid_dims
      - .offset:         88
        .size:           8
        .value_kind:     hidden_hostcall_buffer
    .group_segment_fixed_size: 0
    .kernarg_segment_align: 8
    .kernarg_segment_size: 264
    .language:       OpenCL C
    .language_version:
      - 2
      - 0
    .max_flat_workgroup_size: 1024
    .name:           _ZN19hipPrintfStressTest35kernel_printf_single_conditionalstrEj
    .private_segment_fixed_size: 0
    .sgpr_count:     35
    .sgpr_spill_count: 0
    .symbol:         _ZN19hipPrintfStressTest35kernel_printf_single_conditionalstrEj.kd
    .uniform_work_group_size: 1
    .uses_dynamic_stack: false
    .vgpr_count:     33
    .vgpr_spill_count: 0
    .wavefront_size: 64
  - .args:
      - .offset:         0
        .size:           4
        .value_kind:     by_value
      - .address_space:  global
        .offset:         8
        .size:           8
        .value_kind:     global_buffer
      - .offset:         16
        .size:           4
        .value_kind:     hidden_block_count_x
      - .offset:         20
        .size:           4
        .value_kind:     hidden_block_count_y
      - .offset:         24
        .size:           4
        .value_kind:     hidden_block_count_z
      - .offset:         28
        .size:           2
        .value_kind:     hidden_group_size_x
      - .offset:         30
        .size:           2
        .value_kind:     hidden_group_size_y
      - .offset:         32
        .size:           2
        .value_kind:     hidden_group_size_z
      - .offset:         34
        .size:           2
        .value_kind:     hidden_remainder_x
      - .offset:         36
        .size:           2
        .value_kind:     hidden_remainder_y
      - .offset:         38
        .size:           2
        .value_kind:     hidden_remainder_z
      - .offset:         56
        .size:           8
        .value_kind:     hidden_global_offset_x
      - .offset:         64
        .size:           8
        .value_kind:     hidden_global_offset_y
      - .offset:         72
        .size:           8
        .value_kind:     hidden_global_offset_z
      - .offset:         80
        .size:           2
        .value_kind:     hidden_grid_dims
      - .offset:         96
        .size:           8
        .value_kind:     hidden_hostcall_buffer
    .group_segment_fixed_size: 0
    .kernarg_segment_align: 8
    .kernarg_segment_size: 272
    .language:       OpenCL C
    .language_version:
      - 2
      - 0
    .max_flat_workgroup_size: 1024
    .name:           _ZN19hipPrintfStressTest25kernel_printf_variablestrEjPi
    .private_segment_fixed_size: 0
    .sgpr_count:     38
    .sgpr_spill_count: 0
    .symbol:         _ZN19hipPrintfStressTest25kernel_printf_variablestrEjPi.kd
    .uniform_work_group_size: 1
    .uses_dynamic_stack: false
    .vgpr_count:     40
    .vgpr_spill_count: 0
    .wavefront_size: 64
  - .args:
      - .offset:         0
        .size:           4
        .value_kind:     by_value
      - .address_space:  global
        .offset:         8
        .size:           8
        .value_kind:     global_buffer
      - .offset:         16
        .size:           4
        .value_kind:     hidden_block_count_x
      - .offset:         20
        .size:           4
        .value_kind:     hidden_block_count_y
      - .offset:         24
        .size:           4
        .value_kind:     hidden_block_count_z
      - .offset:         28
        .size:           2
        .value_kind:     hidden_group_size_x
      - .offset:         30
        .size:           2
        .value_kind:     hidden_group_size_y
      - .offset:         32
        .size:           2
        .value_kind:     hidden_group_size_z
      - .offset:         34
        .size:           2
        .value_kind:     hidden_remainder_x
      - .offset:         36
        .size:           2
        .value_kind:     hidden_remainder_y
      - .offset:         38
        .size:           2
        .value_kind:     hidden_remainder_z
      - .offset:         56
        .size:           8
        .value_kind:     hidden_global_offset_x
      - .offset:         64
        .size:           8
        .value_kind:     hidden_global_offset_y
      - .offset:         72
        .size:           8
        .value_kind:     hidden_global_offset_z
      - .offset:         80
        .size:           2
        .value_kind:     hidden_grid_dims
      - .offset:         96
        .size:           8
        .value_kind:     hidden_hostcall_buffer
    .group_segment_fixed_size: 0
    .kernarg_segment_align: 8
    .kernarg_segment_size: 272
    .language:       OpenCL C
    .language_version:
      - 2
      - 0
    .max_flat_workgroup_size: 1024
    .name:           _ZN19hipPrintfStressTest21kernel_dependent_calcEjPi
    .private_segment_fixed_size: 0
    .sgpr_count:     38
    .sgpr_spill_count: 0
    .symbol:         _ZN19hipPrintfStressTest21kernel_dependent_calcEjPi.kd
    .uniform_work_group_size: 1
    .uses_dynamic_stack: false
    .vgpr_count:     44
    .vgpr_spill_count: 0
    .wavefront_size: 64
  - .args:
      - .offset:         0
        .size:           4
        .value_kind:     by_value
      - .address_space:  global
        .offset:         8
        .size:           8
        .value_kind:     global_buffer
      - .offset:         16
        .size:           4
        .value_kind:     hidden_block_count_x
      - .offset:         20
        .size:           4
        .value_kind:     hidden_block_count_y
      - .offset:         24
        .size:           4
        .value_kind:     hidden_block_count_z
      - .offset:         28
        .size:           2
        .value_kind:     hidden_group_size_x
      - .offset:         30
        .size:           2
        .value_kind:     hidden_group_size_y
      - .offset:         32
        .size:           2
        .value_kind:     hidden_group_size_z
      - .offset:         34
        .size:           2
        .value_kind:     hidden_remainder_x
      - .offset:         36
        .size:           2
        .value_kind:     hidden_remainder_y
      - .offset:         38
        .size:           2
        .value_kind:     hidden_remainder_z
      - .offset:         56
        .size:           8
        .value_kind:     hidden_global_offset_x
      - .offset:         64
        .size:           8
        .value_kind:     hidden_global_offset_y
      - .offset:         72
        .size:           8
        .value_kind:     hidden_global_offset_z
      - .offset:         80
        .size:           2
        .value_kind:     hidden_grid_dims
      - .offset:         96
        .size:           8
        .value_kind:     hidden_hostcall_buffer
    .group_segment_fixed_size: 16384
    .kernarg_segment_align: 8
    .kernarg_segment_size: 272
    .language:       OpenCL C
    .language_version:
      - 2
      - 0
    .max_flat_workgroup_size: 1024
    .name:           _ZN19hipPrintfStressTest28kernel_dependent_calc_atomicEjPi
    .private_segment_fixed_size: 0
    .sgpr_count:     38
    .sgpr_spill_count: 0
    .symbol:         _ZN19hipPrintfStressTest28kernel_dependent_calc_atomicEjPi.kd
    .uniform_work_group_size: 1
    .uses_dynamic_stack: false
    .vgpr_count:     54
    .vgpr_spill_count: 0
    .wavefront_size: 64
  - .args:
      - .offset:         0
        .size:           4
        .value_kind:     by_value
      - .offset:         4
        .size:           4
        .value_kind:     by_value
      - .offset:         8
        .size:           4
        .value_kind:     hidden_block_count_x
      - .offset:         12
        .size:           4
        .value_kind:     hidden_block_count_y
      - .offset:         16
        .size:           4
        .value_kind:     hidden_block_count_z
      - .offset:         20
        .size:           2
        .value_kind:     hidden_group_size_x
      - .offset:         22
        .size:           2
        .value_kind:     hidden_group_size_y
      - .offset:         24
        .size:           2
        .value_kind:     hidden_group_size_z
      - .offset:         26
        .size:           2
        .value_kind:     hidden_remainder_x
      - .offset:         28
        .size:           2
        .value_kind:     hidden_remainder_y
      - .offset:         30
        .size:           2
        .value_kind:     hidden_remainder_z
      - .offset:         48
        .size:           8
        .value_kind:     hidden_global_offset_x
      - .offset:         56
        .size:           8
        .value_kind:     hidden_global_offset_y
      - .offset:         64
        .size:           8
        .value_kind:     hidden_global_offset_z
      - .offset:         72
        .size:           2
        .value_kind:     hidden_grid_dims
      - .offset:         88
        .size:           8
        .value_kind:     hidden_hostcall_buffer
    .group_segment_fixed_size: 0
    .kernarg_segment_align: 8
    .kernarg_segment_size: 264
    .language:       OpenCL C
    .language_version:
      - 2
      - 0
    .max_flat_workgroup_size: 1024
    .name:           _ZN19hipPrintfStressTest26kernel_decimal_calculationEji
    .private_segment_fixed_size: 0
    .sgpr_count:     42
    .sgpr_spill_count: 0
    .symbol:         _ZN19hipPrintfStressTest26kernel_decimal_calculationEji.kd
    .uniform_work_group_size: 1
    .uses_dynamic_stack: false
    .vgpr_count:     39
    .vgpr_spill_count: 0
    .wavefront_size: 64
  - .args:
      - .offset:         0
        .size:           4
        .value_kind:     hidden_block_count_x
      - .offset:         4
        .size:           4
        .value_kind:     hidden_block_count_y
      - .offset:         8
        .size:           4
        .value_kind:     hidden_block_count_z
      - .offset:         12
        .size:           2
        .value_kind:     hidden_group_size_x
      - .offset:         14
        .size:           2
        .value_kind:     hidden_group_size_y
      - .offset:         16
        .size:           2
        .value_kind:     hidden_group_size_z
      - .offset:         18
        .size:           2
        .value_kind:     hidden_remainder_x
      - .offset:         20
        .size:           2
        .value_kind:     hidden_remainder_y
      - .offset:         22
        .size:           2
        .value_kind:     hidden_remainder_z
      - .offset:         40
        .size:           8
        .value_kind:     hidden_global_offset_x
      - .offset:         48
        .size:           8
        .value_kind:     hidden_global_offset_y
      - .offset:         56
        .size:           8
        .value_kind:     hidden_global_offset_z
      - .offset:         64
        .size:           2
        .value_kind:     hidden_grid_dims
      - .offset:         80
        .size:           8
        .value_kind:     hidden_hostcall_buffer
    .group_segment_fixed_size: 4
    .kernarg_segment_align: 8
    .kernarg_segment_size: 256
    .language:       OpenCL C
    .language_version:
      - 2
      - 0
    .max_flat_workgroup_size: 1024
    .name:           _ZN19hipPrintfStressTest17kernel_shared_memEv
    .private_segment_fixed_size: 0
    .sgpr_count:     23
    .sgpr_spill_count: 0
    .symbol:         _ZN19hipPrintfStressTest17kernel_shared_memEv.kd
    .uniform_work_group_size: 1
    .uses_dynamic_stack: false
    .vgpr_count:     33
    .vgpr_spill_count: 0
    .wavefront_size: 64
  - .args:
      - .offset:         0
        .size:           4
        .value_kind:     hidden_block_count_x
      - .offset:         4
        .size:           4
        .value_kind:     hidden_block_count_y
      - .offset:         8
        .size:           4
        .value_kind:     hidden_block_count_z
      - .offset:         12
        .size:           2
        .value_kind:     hidden_group_size_x
      - .offset:         14
        .size:           2
        .value_kind:     hidden_group_size_y
      - .offset:         16
        .size:           2
        .value_kind:     hidden_group_size_z
      - .offset:         18
        .size:           2
        .value_kind:     hidden_remainder_x
      - .offset:         20
        .size:           2
        .value_kind:     hidden_remainder_y
      - .offset:         22
        .size:           2
        .value_kind:     hidden_remainder_z
      - .offset:         40
        .size:           8
        .value_kind:     hidden_global_offset_x
      - .offset:         48
        .size:           8
        .value_kind:     hidden_global_offset_y
      - .offset:         56
        .size:           8
        .value_kind:     hidden_global_offset_z
      - .offset:         64
        .size:           2
        .value_kind:     hidden_grid_dims
      - .offset:         80
        .size:           8
        .value_kind:     hidden_hostcall_buffer
    .group_segment_fixed_size: 0
    .kernarg_segment_align: 8
    .kernarg_segment_size: 256
    .language:       OpenCL C
    .language_version:
      - 2
      - 0
    .max_flat_workgroup_size: 1024
    .name:           _ZN19hipPrintfStressTest26kernel_synchronized_printfEv
    .private_segment_fixed_size: 0
    .sgpr_count:     27
    .sgpr_spill_count: 0
    .symbol:         _ZN19hipPrintfStressTest26kernel_synchronized_printfEv.kd
    .uniform_work_group_size: 1
    .uses_dynamic_stack: false
    .vgpr_count:     33
    .vgpr_spill_count: 0
    .wavefront_size: 64
amdhsa.target:   amdgcn-amd-amdhsa--gfx906
amdhsa.version:
  - 1
  - 2
...

	.end_amdgpu_metadata
